;; amdgpu-corpus repo=ROCm/rocFFT kind=compiled arch=gfx1030 opt=O3
	.text
	.amdgcn_target "amdgcn-amd-amdhsa--gfx1030"
	.amdhsa_code_object_version 6
	.protected	bluestein_single_back_len810_dim1_half_op_CI_CI ; -- Begin function bluestein_single_back_len810_dim1_half_op_CI_CI
	.globl	bluestein_single_back_len810_dim1_half_op_CI_CI
	.p2align	8
	.type	bluestein_single_back_len810_dim1_half_op_CI_CI,@function
bluestein_single_back_len810_dim1_half_op_CI_CI: ; @bluestein_single_back_len810_dim1_half_op_CI_CI
; %bb.0:
	s_load_dwordx4 s[8:11], s[4:5], 0x28
	v_mul_u32_u24_e32 v1, 0x32a, v0
	v_mov_b32_e32 v13, 0
	s_mov_b32 s0, exec_lo
	v_lshrrev_b32_e32 v1, 16, v1
	v_add_nc_u32_e32 v12, s6, v1
	s_waitcnt lgkmcnt(0)
	v_cmpx_gt_u64_e64 s[8:9], v[12:13]
	s_cbranch_execz .LBB0_39
; %bb.1:
	s_load_dwordx4 s[0:3], s[4:5], 0x18
	v_mul_lo_u16 v1, 0x51, v1
	v_sub_nc_u16 v7, v0, v1
	v_and_b32_e32 v54, 0xffff, v7
	v_lshlrev_b32_e32 v47, 2, v54
	s_waitcnt lgkmcnt(0)
	s_load_dwordx4 s[12:15], s[0:1], 0x0
	s_load_dwordx2 s[0:1], s[4:5], 0x0
	s_waitcnt lgkmcnt(0)
	s_clause 0x2
	global_load_dword v55, v47, s[0:1] offset:1080
	global_load_dword v56, v47, s[0:1]
	global_load_dword v53, v47, s[0:1] offset:324
	v_mad_u64_u32 v[0:1], null, s14, v12, 0
	v_mad_u64_u32 v[2:3], null, s12, v54, 0
	v_add_co_u32 v10, s6, s0, v47
	v_add_co_ci_u32_e64 v11, null, s1, 0, s6
	s_mul_i32 s7, s13, 0x10e
	v_add_co_u32 v8, vcc_lo, 0x800, v10
	v_mad_u64_u32 v[4:5], null, s15, v12, v[1:2]
	v_mov_b32_e32 v1, v3
	v_add_co_ci_u32_e32 v9, vcc_lo, 0, v11, vcc_lo
	s_mul_hi_u32 s9, s12, 0x10e
	s_mul_i32 s6, s12, 0x10e
	v_mad_u64_u32 v[5:6], null, s13, v54, v[1:2]
	v_mov_b32_e32 v1, v4
	s_mul_i32 s14, s13, 0xfffffe35
	s_mul_hi_u32 s13, s12, 0xfffffe35
	s_add_i32 s7, s9, s7
	s_mul_i32 s8, s12, 0xfffffe35
	v_lshlrev_b64 v[0:1], 2, v[0:1]
	v_mov_b32_e32 v3, v5
	s_sub_i32 s9, s13, s12
	s_lshl_b64 s[12:13], s[6:7], 2
	s_add_i32 s9, s9, s14
	v_add_nc_u32_e32 v4, 0x400, v47
	v_lshlrev_b64 v[2:3], 2, v[2:3]
	v_add_co_u32 v0, vcc_lo, s10, v0
	v_add_co_ci_u32_e32 v1, vcc_lo, s11, v1, vcc_lo
	s_lshl_b64 s[14:15], s[8:9], 2
	v_add_co_u32 v0, vcc_lo, v0, v2
	v_add_co_ci_u32_e32 v1, vcc_lo, v1, v3, vcc_lo
	global_load_dword v5, v[0:1], off
	v_add_co_u32 v0, vcc_lo, v0, s12
	v_add_co_ci_u32_e32 v1, vcc_lo, s13, v1, vcc_lo
	v_add_co_u32 v2, vcc_lo, v0, s12
	v_add_co_ci_u32_e32 v3, vcc_lo, s13, v1, vcc_lo
	global_load_dword v6, v[0:1], off
	v_add_co_u32 v0, vcc_lo, v2, s14
	v_add_co_ci_u32_e32 v1, vcc_lo, s15, v3, vcc_lo
	global_load_dword v13, v[2:3], off
	s_clause 0x2
	global_load_dword v52, v47, s[0:1] offset:1404
	global_load_dword v49, v47, s[0:1] offset:1728
	global_load_dword v57, v[8:9], off offset:112
	global_load_dword v14, v[0:1], off
	v_add_co_u32 v0, vcc_lo, v0, s12
	v_add_co_ci_u32_e32 v1, vcc_lo, s13, v1, vcc_lo
	global_load_dword v51, v[8:9], off offset:436
	v_add_co_u32 v2, vcc_lo, v0, s12
	v_add_co_ci_u32_e32 v3, vcc_lo, s13, v1, vcc_lo
	global_load_dword v15, v[0:1], off
	v_add_co_u32 v0, vcc_lo, v2, s14
	v_add_co_ci_u32_e32 v1, vcc_lo, s15, v3, vcc_lo
	global_load_dword v16, v[2:3], off
	;; [unrolled: 3-line block ×3, first 2 shown]
	v_add_co_u32 v0, vcc_lo, v2, s12
	v_add_co_ci_u32_e32 v1, vcc_lo, s13, v3, vcc_lo
	global_load_dword v50, v47, s[0:1] offset:648
	global_load_dword v2, v[2:3], off
	global_load_dword v3, v[0:1], off
	global_load_dword v48, v[8:9], off offset:760
	s_load_dwordx2 s[6:7], s[4:5], 0x38
	s_load_dwordx4 s[8:11], s[2:3], 0x0
	v_cmp_gt_u16_e32 vcc_lo, 27, v7
	s_waitcnt vmcnt(14)
	v_lshrrev_b32_e32 v18, 16, v5
	v_mul_f16_sdwa v19, v56, v5 dst_sel:DWORD dst_unused:UNUSED_PAD src0_sel:WORD_1 src1_sel:DWORD
	v_mul_f16_sdwa v20, v56, v18 dst_sel:DWORD dst_unused:UNUSED_PAD src0_sel:WORD_1 src1_sel:DWORD
	v_fma_f16 v18, v56, v18, -v19
	s_waitcnt vmcnt(13)
	v_lshrrev_b32_e32 v21, 16, v6
	v_mul_f16_sdwa v22, v55, v6 dst_sel:DWORD dst_unused:UNUSED_PAD src0_sel:WORD_1 src1_sel:DWORD
	v_fmac_f16_e32 v20, v56, v5
	s_waitcnt vmcnt(12)
	v_lshrrev_b32_e32 v19, 16, v13
	v_mul_f16_sdwa v5, v55, v21 dst_sel:DWORD dst_unused:UNUSED_PAD src0_sel:WORD_1 src1_sel:DWORD
	v_fma_f16 v21, v55, v21, -v22
	s_waitcnt vmcnt(9)
	v_mul_f16_sdwa v22, v57, v13 dst_sel:DWORD dst_unused:UNUSED_PAD src0_sel:WORD_1 src1_sel:DWORD
	v_pack_b32_f16 v18, v20, v18
	s_waitcnt vmcnt(8)
	v_lshrrev_b32_e32 v20, 16, v14
	v_fmac_f16_e32 v5, v55, v6
	v_mul_f16_sdwa v6, v57, v19 dst_sel:DWORD dst_unused:UNUSED_PAD src0_sel:WORD_1 src1_sel:DWORD
	v_fma_f16 v19, v57, v19, -v22
	v_mul_f16_sdwa v23, v53, v14 dst_sel:DWORD dst_unused:UNUSED_PAD src0_sel:WORD_1 src1_sel:DWORD
	v_pack_b32_f16 v5, v5, v21
	v_fmac_f16_e32 v6, v57, v13
	v_mul_f16_sdwa v13, v53, v20 dst_sel:DWORD dst_unused:UNUSED_PAD src0_sel:WORD_1 src1_sel:DWORD
	s_waitcnt vmcnt(6)
	v_lshrrev_b32_e32 v21, 16, v15
	v_mul_f16_sdwa v22, v52, v15 dst_sel:DWORD dst_unused:UNUSED_PAD src0_sel:WORD_1 src1_sel:DWORD
	ds_write_b32 v47, v5 offset:1080
	v_pack_b32_f16 v5, v6, v19
	v_fmac_f16_e32 v13, v53, v14
	s_waitcnt vmcnt(5)
	v_lshrrev_b32_e32 v14, 16, v16
	v_mul_f16_sdwa v6, v52, v21 dst_sel:DWORD dst_unused:UNUSED_PAD src0_sel:WORD_1 src1_sel:DWORD
	v_fma_f16 v20, v53, v20, -v23
	ds_write_b32 v47, v5 offset:2160
	v_fma_f16 v19, v52, v21, -v22
	v_mul_f16_sdwa v5, v51, v14 dst_sel:DWORD dst_unused:UNUSED_PAD src0_sel:WORD_1 src1_sel:DWORD
	v_mul_f16_sdwa v21, v51, v16 dst_sel:DWORD dst_unused:UNUSED_PAD src0_sel:WORD_1 src1_sel:DWORD
	v_fmac_f16_e32 v6, v52, v15
	s_waitcnt vmcnt(4)
	v_lshrrev_b32_e32 v15, 16, v17
	v_pack_b32_f16 v13, v13, v20
	s_waitcnt vmcnt(3)
	v_mul_f16_sdwa v20, v50, v17 dst_sel:DWORD dst_unused:UNUSED_PAD src0_sel:WORD_1 src1_sel:DWORD
	v_fmac_f16_e32 v5, v51, v16
	s_waitcnt vmcnt(2)
	v_lshrrev_b32_e32 v16, 16, v2
	s_waitcnt vmcnt(1)
	v_lshrrev_b32_e32 v22, 16, v3
	v_fma_f16 v14, v51, v14, -v21
	v_mul_f16_sdwa v21, v50, v15 dst_sel:DWORD dst_unused:UNUSED_PAD src0_sel:WORD_1 src1_sel:DWORD
	v_fma_f16 v15, v50, v15, -v20
	v_mul_f16_sdwa v20, v49, v2 dst_sel:DWORD dst_unused:UNUSED_PAD src0_sel:WORD_1 src1_sel:DWORD
	v_mul_f16_sdwa v23, v49, v16 dst_sel:DWORD dst_unused:UNUSED_PAD src0_sel:WORD_1 src1_sel:DWORD
	s_waitcnt vmcnt(0)
	v_mul_f16_sdwa v24, v48, v3 dst_sel:DWORD dst_unused:UNUSED_PAD src0_sel:WORD_1 src1_sel:DWORD
	v_mul_f16_sdwa v25, v48, v22 dst_sel:DWORD dst_unused:UNUSED_PAD src0_sel:WORD_1 src1_sel:DWORD
	v_fmac_f16_e32 v21, v50, v17
	v_fma_f16 v16, v49, v16, -v20
	v_fmac_f16_e32 v23, v49, v2
	v_fma_f16 v2, v48, v22, -v24
	v_fmac_f16_e32 v25, v48, v3
	v_pack_b32_f16 v3, v6, v19
	v_pack_b32_f16 v6, v5, v14
	v_add_nc_u32_e32 v5, 0x800, v47
	v_pack_b32_f16 v14, v21, v15
	v_pack_b32_f16 v15, v23, v16
	v_pack_b32_f16 v2, v25, v2
	ds_write2_b32 v47, v18, v13 offset1:81
	ds_write_b32 v47, v14 offset:648
	ds_write2_b32 v4, v3, v15 offset0:95 offset1:176
	ds_write2_b32 v5, v6, v2 offset0:109 offset1:190
	s_and_saveexec_b32 s1, vcc_lo
	s_cbranch_execz .LBB0_3
; %bb.2:
	v_add_co_u32 v0, s0, v0, s14
	v_add_co_ci_u32_e64 v1, s0, s15, v1, s0
	v_add_co_u32 v2, s0, v0, s12
	v_add_co_ci_u32_e64 v3, s0, s13, v1, s0
	;; [unrolled: 2-line block ×3, first 2 shown]
	global_load_dword v0, v[0:1], off
	global_load_dword v1, v[10:11], off offset:972
	global_load_dword v2, v[2:3], off
	global_load_dword v3, v[6:7], off
	s_clause 0x1
	global_load_dword v6, v[8:9], off offset:4
	global_load_dword v7, v[8:9], off offset:1084
	s_waitcnt vmcnt(5)
	v_lshrrev_b32_e32 v13, 16, v0
	s_waitcnt vmcnt(4)
	v_mul_f16_sdwa v14, v1, v0 dst_sel:DWORD dst_unused:UNUSED_PAD src0_sel:WORD_1 src1_sel:DWORD
	s_waitcnt vmcnt(3)
	v_lshrrev_b32_e32 v15, 16, v2
	s_waitcnt vmcnt(2)
	v_lshrrev_b32_e32 v16, 16, v3
	v_mul_f16_sdwa v17, v1, v13 dst_sel:DWORD dst_unused:UNUSED_PAD src0_sel:WORD_1 src1_sel:DWORD
	v_fma_f16 v13, v1, v13, -v14
	s_waitcnt vmcnt(1)
	v_mul_f16_sdwa v14, v6, v2 dst_sel:DWORD dst_unused:UNUSED_PAD src0_sel:WORD_1 src1_sel:DWORD
	v_mul_f16_sdwa v18, v6, v15 dst_sel:DWORD dst_unused:UNUSED_PAD src0_sel:WORD_1 src1_sel:DWORD
	s_waitcnt vmcnt(0)
	v_mul_f16_sdwa v19, v7, v16 dst_sel:DWORD dst_unused:UNUSED_PAD src0_sel:WORD_1 src1_sel:DWORD
	v_mul_f16_sdwa v20, v7, v3 dst_sel:DWORD dst_unused:UNUSED_PAD src0_sel:WORD_1 src1_sel:DWORD
	v_fmac_f16_e32 v17, v1, v0
	v_fma_f16 v0, v6, v15, -v14
	v_fmac_f16_e32 v18, v6, v2
	v_fmac_f16_e32 v19, v7, v3
	v_fma_f16 v1, v7, v16, -v20
	v_pack_b32_f16 v2, v17, v13
	v_pack_b32_f16 v0, v18, v0
	;; [unrolled: 1-line block ×3, first 2 shown]
	ds_write_b32 v47, v2 offset:972
	ds_write_b32 v47, v0 offset:2052
	;; [unrolled: 1-line block ×3, first 2 shown]
.LBB0_3:
	s_or_b32 exec_lo, exec_lo, s1
	v_add_nc_u32_e32 v0, 0x200, v47
	s_waitcnt lgkmcnt(0)
	s_barrier
	buffer_gl0_inv
	ds_read2_b32 v[6:7], v47 offset1:81
	ds_read2_b32 v[2:3], v0 offset0:34 offset1:142
	ds_read2_b32 v[0:1], v5 offset0:28 offset1:109
	;; [unrolled: 1-line block ×3, first 2 shown]
	ds_read_b32 v16, v47 offset:2808
                                        ; implicit-def: $vgpr14
                                        ; implicit-def: $vgpr15
                                        ; implicit-def: $vgpr13
	s_and_saveexec_b32 s0, vcc_lo
	s_cbranch_execz .LBB0_5
; %bb.4:
	ds_read_b32 v14, v47 offset:972
	ds_read_b32 v15, v47 offset:2052
	;; [unrolled: 1-line block ×3, first 2 shown]
.LBB0_5:
	s_or_b32 exec_lo, exec_lo, s0
	s_waitcnt lgkmcnt(3)
	v_pk_add_f16 v19, v6, v3
	s_waitcnt lgkmcnt(2)
	v_pk_add_f16 v20, v3, v0
	v_pk_add_f16 v3, v3, v0 neg_lo:[0,1] neg_hi:[0,1]
	v_add_co_u32 v74, s0, 0x51, v54
	v_add_co_ci_u32_e64 v29, null, 0, 0, s0
	v_add_co_u32 v73, s0, 0xa2, v54
	v_pk_fma_f16 v6, v20, 0.5, v6 op_sel_hi:[1,0,1] neg_lo:[1,0,0] neg_hi:[1,0,0]
	v_pk_mul_f16 v3, 0x3aee, v3 op_sel_hi:[0,1]
	v_add_co_ci_u32_e64 v17, null, 0, 0, s0
	s_waitcnt lgkmcnt(0)
	v_pk_add_f16 v17, v15, v13
	v_pk_add_f16 v18, v15, v13 neg_lo:[0,1] neg_hi:[0,1]
	v_mul_lo_u16 v22, v54, 3
	v_mov_b32_e32 v23, 2
	v_pk_add_f16 v24, v6, v3 op_sel:[0,1] op_sel_hi:[1,0]
	v_pk_add_f16 v3, v6, v3 op_sel:[0,1] op_sel_hi:[1,0] neg_lo:[0,1] neg_hi:[0,1]
	v_pk_fma_f16 v17, v17, 0.5, v14 op_sel_hi:[1,0,1] neg_lo:[1,0,0] neg_hi:[1,0,0]
	v_pk_mul_f16 v18, 0x3aee, v18 op_sel_hi:[0,1]
	v_lshlrev_b32_sdwa v60, v23, v22 dst_sel:DWORD dst_unused:UNUSED_PAD src0_sel:DWORD src1_sel:WORD_0
	v_pk_add_f16 v0, v19, v0
	v_bfi_b32 v6, 0xffff, v24, v3
	s_load_dwordx2 s[2:3], s[4:5], 0x8
	v_pk_add_f16 v30, v17, v18 op_sel:[0,1] op_sel_hi:[1,0]
	v_pk_add_f16 v31, v17, v18 op_sel:[0,1] op_sel_hi:[1,0] neg_lo:[0,1] neg_hi:[0,1]
	v_pk_add_f16 v17, v4, v1
	s_waitcnt lgkmcnt(0)
	s_barrier
	buffer_gl0_inv
	ds_write2_b32 v60, v0, v6 offset1:1
	v_bfi_b32 v0, 0xffff, v3, v24
	v_pk_add_f16 v3, v4, v1 neg_lo:[0,1] neg_hi:[0,1]
	v_pk_add_f16 v21, v7, v4
	v_pk_add_f16 v20, v2, v5
	v_pk_fma_f16 v6, v17, 0.5, v7 op_sel_hi:[1,0,1] neg_lo:[1,0,0] neg_hi:[1,0,0]
	v_pk_add_f16 v7, v5, v16
	v_pk_add_f16 v5, v5, v16 neg_lo:[0,1] neg_hi:[0,1]
	v_mul_u32_u24_e32 v4, 3, v74
	v_pk_mul_f16 v3, 0x3aee, v3 op_sel_hi:[0,1]
	ds_write_b32 v60, v0 offset:8
	v_pk_fma_f16 v0, v7, 0.5, v2 op_sel_hi:[1,0,1] neg_lo:[1,0,0] neg_hi:[1,0,0]
	v_pk_mul_f16 v2, 0x3aee, v5 op_sel_hi:[0,1]
	v_add_co_u32 v71, s0, 0xf3, v54
	v_lshlrev_b32_e32 v61, 2, v4
	v_pk_add_f16 v4, v6, v3 op_sel:[0,1] op_sel_hi:[1,0]
	v_pk_add_f16 v3, v6, v3 op_sel:[0,1] op_sel_hi:[1,0] neg_lo:[0,1] neg_hi:[0,1]
	v_mul_u32_u24_e32 v5, 3, v73
	v_pk_add_f16 v6, v0, v2 op_sel:[0,1] op_sel_hi:[1,0]
	v_pk_add_f16 v0, v0, v2 op_sel:[0,1] op_sel_hi:[1,0] neg_lo:[0,1] neg_hi:[0,1]
	v_add_co_ci_u32_e64 v72, null, 0, 0, s0
	v_lshrrev_b32_e32 v32, 16, v30
	v_pk_add_f16 v1, v21, v1
	v_bfi_b32 v2, 0xffff, v4, v3
	v_lshlrev_b32_e32 v63, 2, v5
	v_mul_u32_u24_e32 v62, 3, v71
	v_bfi_b32 v3, 0xffff, v3, v4
	v_pk_add_f16 v4, v20, v16
	v_bfi_b32 v5, 0xffff, v6, v0
	v_bfi_b32 v0, 0xffff, v0, v6
	ds_write2_b32 v61, v1, v2 offset1:1
	ds_write_b32 v61, v3 offset:8
	ds_write2_b32 v63, v4, v5 offset1:1
	ds_write_b32 v63, v0 offset:8
	s_and_saveexec_b32 s0, vcc_lo
	s_cbranch_execz .LBB0_7
; %bb.6:
	v_pk_add_f16 v0, v14, v15
	v_lshlrev_b32_e32 v1, 2, v62
	v_bfi_b32 v2, 0xffff, v30, v31
	v_perm_b32 v3, v32, v31, 0x5040100
	v_pk_add_f16 v0, v0, v13
	ds_write_b32 v1, v0
	ds_write2_b32 v1, v2, v3 offset0:1 offset1:2
.LBB0_7:
	s_or_b32 exec_lo, exec_lo, s0
	v_and_b32_e32 v13, 0xff, v54
	s_waitcnt lgkmcnt(0)
	s_barrier
	buffer_gl0_inv
	v_add_nc_u32_e32 v27, 0x400, v47
	v_mul_lo_u16 v0, 0xab, v13
	v_add_nc_u32_e32 v20, 0x600, v47
	v_add_nc_u32_e32 v26, 0x800, v47
	v_mov_b32_e32 v28, 30
	v_add_nc_u32_e32 v33, 0x200, v47
	v_lshrrev_b16 v24, 9, v0
	v_mul_lo_u16 v0, v24, 3
	v_mul_u32_u24_sdwa v24, v24, v28 dst_sel:DWORD dst_unused:UNUSED_PAD src0_sel:WORD_0 src1_sel:DWORD
	v_sub_nc_u16 v0, v54, v0
	v_and_b32_e32 v25, 0xff, v0
	v_mad_u64_u32 v[14:15], null, v25, 36, s[2:3]
	v_add_lshl_u32 v58, v24, v25, 2
	s_clause 0x2
	global_load_dwordx4 v[4:7], v[14:15], off
	global_load_dwordx4 v[0:3], v[14:15], off offset:16
	global_load_dword v59, v[14:15], off offset:32
	ds_read2_b32 v[14:15], v47 offset1:81
	ds_read2_b32 v[16:17], v47 offset0:162 offset1:243
	ds_read2_b32 v[18:19], v27 offset0:68 offset1:149
	;; [unrolled: 1-line block ×4, first 2 shown]
	s_waitcnt vmcnt(0) lgkmcnt(0)
	s_barrier
	buffer_gl0_inv
	v_lshrrev_b32_e32 v37, 16, v18
	v_lshrrev_b32_e32 v34, 16, v15
	;; [unrolled: 1-line block ×10, first 2 shown]
	v_mul_f16_sdwa v24, v34, v4 dst_sel:DWORD dst_unused:UNUSED_PAD src0_sel:DWORD src1_sel:WORD_1
	v_mul_f16_sdwa v25, v15, v4 dst_sel:DWORD dst_unused:UNUSED_PAD src0_sel:DWORD src1_sel:WORD_1
	;; [unrolled: 1-line block ×18, first 2 shown]
	v_fma_f16 v15, v15, v4, -v24
	v_fmac_f16_e32 v25, v34, v4
	v_fma_f16 v16, v16, v5, -v43
	v_fmac_f16_e32 v44, v35, v5
	;; [unrolled: 2-line block ×9, first 2 shown]
	v_add_f16_e32 v24, v14, v16
	v_add_f16_e32 v34, v18, v20
	v_sub_f16_e32 v37, v16, v18
	v_sub_f16_e32 v38, v22, v20
	v_add_f16_e32 v39, v16, v22
	v_sub_f16_e32 v40, v18, v16
	v_sub_f16_e32 v41, v20, v22
	v_add_f16_e32 v42, v28, v44
	v_add_f16_e32 v43, v65, v69
	v_sub_f16_e32 v64, v44, v65
	v_sub_f16_e32 v66, v77, v69
	v_add_f16_e32 v76, v15, v17
	v_add_f16_e32 v78, v19, v21
	;; [unrolled: 1-line block ×6, first 2 shown]
	v_sub_f16_e32 v35, v44, v77
	v_sub_f16_e32 v36, v65, v69
	;; [unrolled: 1-line block ×3, first 2 shown]
	v_add_f16_e32 v68, v44, v77
	v_sub_f16_e32 v44, v65, v44
	v_sub_f16_e32 v80, v46, v79
	;; [unrolled: 1-line block ×6, first 2 shown]
	v_add_f16_e32 v18, v24, v18
	v_add_f16_e32 v24, v37, v38
	v_fma_f16 v34, -0.5, v34, v14
	v_fmac_f16_e32 v14, -0.5, v39
	v_add_f16_e32 v37, v40, v41
	v_add_f16_e32 v38, v42, v65
	;; [unrolled: 1-line block ×3, first 2 shown]
	v_fma_f16 v40, -0.5, v43, v28
	v_add_f16_e32 v19, v76, v19
	v_fma_f16 v43, -0.5, v78, v15
	v_add_f16_e32 v64, v87, v67
	v_fma_f16 v65, -0.5, v88, v25
	v_sub_f16_e32 v70, v69, v77
	v_sub_f16_e32 v81, v67, v75
	v_fmac_f16_e32 v15, -0.5, v84
	v_fmac_f16_e32 v25, -0.5, v92
	v_sub_f16_e32 v83, v23, v21
	v_sub_f16_e32 v86, v21, v23
	;; [unrolled: 1-line block ×5, first 2 shown]
	v_fmac_f16_e32 v28, -0.5, v68
	v_add_f16_e32 v19, v19, v21
	v_fmamk_f16 v21, v80, 0x3b9c, v43
	v_add_f16_e32 v64, v64, v75
	v_fmamk_f16 v75, v17, 0xbb9c, v65
	v_sub_f16_e32 v46, v67, v46
	v_add_f16_e32 v41, v44, v70
	v_fmamk_f16 v70, v81, 0xbb9c, v15
	v_fmac_f16_e32 v15, 0x3b9c, v81
	v_fmamk_f16 v76, v89, 0x3b9c, v25
	v_fmac_f16_e32 v25, 0xbb9c, v89
	v_sub_f16_e32 v16, v16, v22
	v_fmac_f16_e32 v43, 0xbb9c, v80
	v_fmac_f16_e32 v65, 0x3b9c, v17
	v_add_f16_e32 v42, v82, v83
	v_add_f16_e32 v66, v90, v91
	;; [unrolled: 1-line block ×4, first 2 shown]
	v_fmamk_f16 v69, v45, 0x3b9c, v28
	v_fmac_f16_e32 v28, 0xbb9c, v45
	v_fmac_f16_e32 v21, 0x38b4, v81
	;; [unrolled: 1-line block ×3, first 2 shown]
	v_add_f16_e32 v44, v85, v86
	v_add_f16_e32 v46, v46, v93
	v_fmamk_f16 v20, v35, 0x3b9c, v34
	v_fmac_f16_e32 v34, 0xbb9c, v35
	v_fmamk_f16 v67, v36, 0xbb9c, v14
	v_fmac_f16_e32 v14, 0x3b9c, v36
	v_fmac_f16_e32 v70, 0x38b4, v80
	;; [unrolled: 1-line block ×5, first 2 shown]
	v_fmamk_f16 v68, v16, 0xbb9c, v40
	v_fmac_f16_e32 v40, 0x3b9c, v16
	v_fmac_f16_e32 v43, 0xb8b4, v81
	;; [unrolled: 1-line block ×3, first 2 shown]
	v_add_f16_e32 v18, v18, v22
	v_add_f16_e32 v22, v38, v77
	v_fmac_f16_e32 v69, 0xb8b4, v16
	v_fmac_f16_e32 v28, 0x38b4, v16
	v_add_f16_e32 v16, v19, v23
	v_add_f16_e32 v19, v64, v79
	v_fmac_f16_e32 v21, 0x34f2, v42
	v_fmac_f16_e32 v75, 0x34f2, v66
	;; [unrolled: 1-line block ×14, first 2 shown]
	v_add_f16_e32 v17, v18, v16
	v_add_f16_e32 v23, v22, v19
	v_sub_f16_e32 v16, v18, v16
	v_sub_f16_e32 v18, v22, v19
	v_mul_f16_e32 v19, 0x38b4, v75
	v_mul_f16_e32 v36, 0xb8b4, v21
	v_fmac_f16_e32 v20, 0x34f2, v24
	v_fmac_f16_e32 v34, 0x34f2, v24
	;; [unrolled: 1-line block ×4, first 2 shown]
	v_mul_f16_e32 v22, 0x3b9c, v76
	v_mul_f16_e32 v24, 0x34f2, v15
	;; [unrolled: 1-line block ×4, first 2 shown]
	v_fmac_f16_e32 v68, 0x34f2, v39
	v_fmac_f16_e32 v40, 0x34f2, v39
	v_mul_f16_e32 v35, 0x3a79, v43
	v_mul_f16_e32 v39, 0x3a79, v65
	v_fmac_f16_e32 v19, 0x3a79, v21
	v_fmac_f16_e32 v36, 0x3a79, v75
	;; [unrolled: 1-line block ×4, first 2 shown]
	v_pack_b32_f16 v16, v16, v18
	v_fmac_f16_e32 v22, 0x34f2, v70
	v_fma_f16 v18, v25, 0x3b9c, -v24
	v_fmac_f16_e32 v38, 0x34f2, v76
	v_fma_f16 v15, v15, 0xbb9c, -v37
	v_pack_b32_f16 v17, v17, v23
	v_fma_f16 v21, v65, 0x38b4, -v35
	v_fma_f16 v23, v43, 0xb8b4, -v39
	v_add_f16_e32 v24, v20, v19
	v_add_f16_e32 v41, v68, v36
	v_add_f16_e32 v25, v67, v22
	v_add_f16_e32 v35, v14, v18
	v_add_f16_e32 v42, v69, v38
	v_add_f16_e32 v43, v28, v15
	v_add_f16_e32 v39, v34, v21
	v_add_f16_e32 v44, v40, v23
	v_sub_f16_e32 v19, v20, v19
	v_sub_f16_e32 v20, v67, v22
	v_sub_f16_e32 v14, v14, v18
	v_sub_f16_e32 v37, v34, v21
	v_sub_f16_e32 v18, v68, v36
	v_sub_f16_e32 v21, v69, v38
	v_sub_f16_e32 v15, v28, v15
	v_sub_f16_e32 v38, v40, v23
	v_pack_b32_f16 v22, v24, v41
	v_pack_b32_f16 v23, v25, v42
	;; [unrolled: 1-line block ×8, first 2 shown]
	ds_write2_b32 v58, v17, v22 offset1:3
	ds_write2_b32 v58, v23, v24 offset0:6 offset1:9
	ds_write2_b32 v58, v25, v16 offset0:12 offset1:15
	;; [unrolled: 1-line block ×4, first 2 shown]
	s_waitcnt lgkmcnt(0)
	s_barrier
	buffer_gl0_inv
	ds_read2_b32 v[23:24], v47 offset1:81
	ds_read2_b32 v[21:22], v33 offset0:34 offset1:142
	ds_read2_b32 v[25:26], v26 offset0:28 offset1:109
	;; [unrolled: 1-line block ×3, first 2 shown]
	ds_read_b32 v33, v47 offset:2808
	v_lshrrev_b32_e32 v34, 16, v31
	s_and_saveexec_b32 s0, vcc_lo
	s_cbranch_execz .LBB0_9
; %bb.8:
	ds_read_b32 v37, v47 offset:972
	ds_read_b32 v30, v47 offset:2052
	;; [unrolled: 1-line block ×3, first 2 shown]
	s_waitcnt lgkmcnt(2)
	v_lshrrev_b32_e32 v38, 16, v37
	s_waitcnt lgkmcnt(1)
	v_lshrrev_b32_e32 v34, 16, v30
	;; [unrolled: 2-line block ×3, first 2 shown]
.LBB0_9:
	s_or_b32 exec_lo, exec_lo, s0
	v_mul_lo_u16 v13, 0x89, v13
	v_and_b32_e32 v14, 0xff, v74
	v_and_b32_e32 v39, 0xff, v73
	v_mov_b32_e32 v15, 0x8889
	v_mov_b32_e32 v65, 0x5a
	v_lshrrev_b16 v35, 12, v13
	v_mul_lo_u16 v13, 0x89, v14
	v_mul_lo_u16 v16, 0x89, v39
	s_waitcnt lgkmcnt(3)
	v_lshrrev_b32_e32 v45, 16, v22
	s_waitcnt lgkmcnt(2)
	v_lshrrev_b32_e32 v46, 16, v25
	v_mul_lo_u16 v14, v35, 30
	v_lshrrev_b16 v36, 12, v13
	v_lshrrev_b16 v40, 12, v16
	v_mul_u32_u24_sdwa v35, v35, v65 dst_sel:DWORD dst_unused:UNUSED_PAD src0_sel:WORD_0 src1_sel:DWORD
	s_waitcnt lgkmcnt(1)
	v_lshrrev_b32_e32 v70, 16, v27
	v_sub_nc_u16 v13, v54, v14
	v_mul_u32_u24_sdwa v14, v71, v15 dst_sel:DWORD dst_unused:UNUSED_PAD src0_sel:WORD_0 src1_sel:DWORD
	v_mul_lo_u16 v15, v36, 30
	v_mul_u32_u24_sdwa v36, v36, v65 dst_sel:DWORD dst_unused:UNUSED_PAD src0_sel:WORD_0 src1_sel:DWORD
	v_lshrrev_b32_e32 v75, 16, v26
	v_and_b32_e32 v41, 0xff, v13
	v_lshrrev_b32_e32 v13, 20, v14
	v_mul_lo_u16 v14, v40, 30
	v_sub_nc_u16 v15, v74, v15
	v_mul_u32_u24_sdwa v40, v40, v65 dst_sel:DWORD dst_unused:UNUSED_PAD src0_sel:WORD_0 src1_sel:DWORD
	v_lshlrev_b32_e32 v16, 3, v41
	v_mul_lo_u16 v13, v13, 30
	v_sub_nc_u16 v14, v73, v14
	v_and_b32_e32 v42, 0xff, v15
	v_lshrrev_b32_e32 v65, 16, v28
	global_load_dwordx2 v[19:20], v16, s[2:3] offset:108
	v_sub_nc_u16 v64, v71, v13
	v_and_b32_e32 v43, 0xff, v14
	v_lshlrev_b32_e32 v13, 3, v42
	s_waitcnt lgkmcnt(0)
	v_lshrrev_b32_e32 v77, 16, v33
	v_add_lshl_u32 v68, v35, v41, 2
	v_lshlrev_b16 v14, 3, v64
	v_lshlrev_b32_e32 v15, 3, v43
	global_load_dwordx2 v[17:18], v13, s[2:3] offset:108
	v_add_lshl_u32 v67, v36, v42, 2
	v_add_lshl_u32 v66, v40, v43, 2
	v_lshrrev_b32_e32 v44, 16, v23
	global_load_dwordx2 v[15:16], v15, s[2:3] offset:108
	v_and_b32_e32 v13, 0xffff, v14
	v_lshrrev_b32_e32 v69, 16, v24
	v_lshrrev_b32_e32 v76, 16, v21
	v_add_co_u32 v13, s0, s2, v13
	v_add_co_ci_u32_e64 v14, null, s3, 0, s0
	global_load_dwordx2 v[13:14], v[13:14], off offset:108
	s_waitcnt vmcnt(0)
	s_barrier
	buffer_gl0_inv
	v_mul_f16_sdwa v35, v45, v19 dst_sel:DWORD dst_unused:UNUSED_PAD src0_sel:DWORD src1_sel:WORD_1
	v_mul_f16_sdwa v36, v22, v19 dst_sel:DWORD dst_unused:UNUSED_PAD src0_sel:DWORD src1_sel:WORD_1
	;; [unrolled: 1-line block ×4, first 2 shown]
	v_fma_f16 v22, v22, v19, -v35
	v_fmac_f16_e32 v36, v45, v19
	v_fma_f16 v25, v25, v20, -v40
	v_fmac_f16_e32 v41, v46, v20
	v_mul_f16_sdwa v35, v70, v17 dst_sel:DWORD dst_unused:UNUSED_PAD src0_sel:DWORD src1_sel:WORD_1
	v_mul_f16_sdwa v40, v27, v17 dst_sel:DWORD dst_unused:UNUSED_PAD src0_sel:DWORD src1_sel:WORD_1
	;; [unrolled: 1-line block ×8, first 2 shown]
	v_fma_f16 v27, v27, v17, -v35
	v_fmac_f16_e32 v40, v70, v17
	v_fma_f16 v26, v26, v18, -v42
	v_fmac_f16_e32 v43, v75, v18
	;; [unrolled: 2-line block ×4, first 2 shown]
	v_mul_f16_sdwa v35, v34, v13 dst_sel:DWORD dst_unused:UNUSED_PAD src0_sel:DWORD src1_sel:WORD_1
	v_mul_f16_sdwa v42, v30, v13 dst_sel:DWORD dst_unused:UNUSED_PAD src0_sel:DWORD src1_sel:WORD_1
	;; [unrolled: 1-line block ×4, first 2 shown]
	v_sub_f16_e32 v77, v36, v41
	v_add_f16_e32 v78, v44, v36
	v_add_f16_e32 v36, v36, v41
	v_add_f16_e32 v75, v22, v25
	v_add_f16_e32 v70, v23, v22
	v_sub_f16_e32 v22, v22, v25
	v_fma_f16 v30, v30, v13, -v35
	v_fmac_f16_e32 v42, v34, v13
	v_fma_f16 v31, v31, v14, -v45
	v_fmac_f16_e32 v65, v32, v14
	v_add_f16_e32 v32, v78, v41
	v_fmac_f16_e32 v44, -0.5, v36
	v_add_f16_e32 v34, v24, v27
	v_sub_f16_e32 v36, v40, v43
	v_add_f16_e32 v41, v69, v40
	v_add_f16_e32 v40, v40, v43
	v_fma_f16 v23, -0.5, v75, v23
	v_add_f16_e32 v35, v27, v26
	v_sub_f16_e32 v75, v46, v79
	v_add_f16_e32 v78, v76, v46
	v_add_f16_e32 v46, v46, v79
	;; [unrolled: 1-line block ×4, first 2 shown]
	v_sub_f16_e32 v27, v27, v26
	v_fmamk_f16 v81, v22, 0xbaee, v44
	v_fmac_f16_e32 v44, 0x3aee, v22
	v_add_f16_e32 v22, v34, v26
	v_add_f16_e32 v26, v41, v43
	v_fmac_f16_e32 v69, -0.5, v40
	v_add_f16_e32 v40, v30, v31
	v_sub_f16_e32 v41, v42, v65
	v_add_f16_e32 v43, v38, v42
	v_add_f16_e32 v42, v42, v65
	;; [unrolled: 1-line block ×3, first 2 shown]
	v_sub_f16_e32 v28, v28, v33
	v_fmamk_f16 v80, v77, 0x3aee, v23
	v_fmac_f16_e32 v24, -0.5, v35
	v_fmac_f16_e32 v76, -0.5, v46
	;; [unrolled: 1-line block ×3, first 2 shown]
	v_fmac_f16_e32 v23, 0xbaee, v77
	v_add_f16_e32 v35, v37, v30
	v_sub_f16_e32 v30, v30, v31
	v_fmac_f16_e32 v37, -0.5, v40
	v_fmac_f16_e32 v38, -0.5, v42
	v_add_f16_e32 v33, v45, v33
	v_pack_b32_f16 v25, v25, v32
	v_fmamk_f16 v32, v36, 0x3aee, v24
	v_fmac_f16_e32 v24, 0xbaee, v36
	v_fmamk_f16 v36, v27, 0xbaee, v69
	v_fmamk_f16 v45, v28, 0xbaee, v76
	v_fmac_f16_e32 v76, 0x3aee, v28
	v_pack_b32_f16 v28, v80, v81
	v_fmac_f16_e32 v69, 0x3aee, v27
	v_add_f16_e32 v34, v78, v79
	v_fmamk_f16 v27, v75, 0x3aee, v21
	v_fmac_f16_e32 v21, 0xbaee, v75
	v_add_f16_e32 v77, v35, v31
	v_add_f16_e32 v78, v43, v65
	v_pack_b32_f16 v23, v23, v44
	v_fmamk_f16 v40, v41, 0x3aee, v37
	v_fmac_f16_e32 v37, 0xbaee, v41
	v_fmamk_f16 v43, v30, 0xbaee, v38
	v_fmac_f16_e32 v38, 0x3aee, v30
	v_pack_b32_f16 v22, v22, v26
	ds_write2_b32 v68, v25, v28 offset1:30
	v_pack_b32_f16 v25, v32, v36
	v_pack_b32_f16 v24, v24, v69
	;; [unrolled: 1-line block ×5, first 2 shown]
	ds_write_b32 v68, v23 offset:240
	ds_write2_b32 v67, v22, v25 offset1:30
	ds_write_b32 v67, v24 offset:240
	ds_write2_b32 v66, v26, v27 offset1:30
	ds_write_b32 v66, v21 offset:240
	s_and_saveexec_b32 s0, vcc_lo
	s_cbranch_execz .LBB0_11
; %bb.10:
	v_mov_b32_e32 v21, 2
	v_perm_b32 v22, v78, v77, 0x5040100
	v_perm_b32 v23, v43, v40, 0x5040100
	;; [unrolled: 1-line block ×3, first 2 shown]
	v_lshlrev_b32_sdwa v21, v21, v64 dst_sel:DWORD dst_unused:UNUSED_PAD src0_sel:DWORD src1_sel:WORD_0
	v_add_nc_u32_e32 v24, 0x800, v21
	ds_write2_b32 v24, v22, v23 offset0:208 offset1:238
	ds_write_b32 v21, v25 offset:3120
.LBB0_11:
	s_or_b32 exec_lo, exec_lo, s0
	v_add_nc_u32_e32 v21, 0x200, v47
	v_add_nc_u32_e32 v23, 0x800, v47
	;; [unrolled: 1-line block ×3, first 2 shown]
	s_waitcnt lgkmcnt(0)
	s_barrier
	buffer_gl0_inv
	ds_read2_b32 v[31:32], v47 offset1:81
	ds_read2_b32 v[21:22], v21 offset0:34 offset1:142
	ds_read2_b32 v[35:36], v23 offset0:28 offset1:109
	;; [unrolled: 1-line block ×3, first 2 shown]
	ds_read_b32 v44, v47 offset:2808
	s_and_saveexec_b32 s0, vcc_lo
	s_cbranch_execz .LBB0_13
; %bb.12:
	ds_read_b32 v77, v47 offset:972
	ds_read_b32 v40, v47 offset:2052
	;; [unrolled: 1-line block ×3, first 2 shown]
	s_waitcnt lgkmcnt(2)
	v_lshrrev_b32_e32 v78, 16, v77
	s_waitcnt lgkmcnt(1)
	v_lshrrev_b32_e32 v43, 16, v40
	;; [unrolled: 2-line block ×3, first 2 shown]
.LBB0_13:
	s_or_b32 exec_lo, exec_lo, s0
	v_add_co_u32 v25, s0, v54, -9
	v_add_co_ci_u32_e64 v26, null, 0, -1, s0
	v_cmp_gt_u16_e64 s0, 9, v54
	v_mov_b32_e32 v27, 0x2d83
	v_lshlrev_b32_e32 v41, 3, v54
	v_mov_b32_e32 v42, 0x10e
	s_waitcnt lgkmcnt(3)
	v_lshrrev_b32_e32 v76, 16, v22
	v_cndmask_b32_e64 v46, v26, v29, s0
	v_mul_lo_u16 v26, 0xb7, v39
	v_cndmask_b32_e64 v45, v25, v74, s0
	v_mul_u32_u24_sdwa v27, v71, v27 dst_sel:DWORD dst_unused:UNUSED_PAD src0_sel:WORD_0 src1_sel:DWORD
	global_load_dwordx2 v[23:24], v41, s[2:3] offset:348
	s_waitcnt lgkmcnt(2)
	v_lshrrev_b32_e32 v79, 16, v35
	v_lshrrev_b16 v39, 14, v26
	v_lshlrev_b64 v[25:26], 3, v[45:46]
	v_lshrrev_b32_e32 v75, 16, v31
	s_waitcnt lgkmcnt(1)
	v_lshrrev_b32_e32 v81, 16, v33
	v_lshrrev_b32_e32 v82, 16, v36
	v_mul_lo_u16 v28, 0x5a, v39
	v_mul_u32_u24_sdwa v39, v39, v42 dst_sel:DWORD dst_unused:UNUSED_PAD src0_sel:WORD_0 src1_sel:DWORD
	v_add_co_u32 v25, s0, s2, v25
	v_add_co_ci_u32_e64 v26, s0, s3, v26, s0
	v_sub_nc_u16 v28, v73, v28
	v_lshrrev_b32_e32 v80, 16, v32
	v_lshrrev_b32_e32 v84, 16, v34
	global_load_dwordx2 v[29:30], v[25:26], off offset:348
	v_lshrrev_b32_e32 v25, 20, v27
	v_and_b32_e32 v46, 0xff, v28
	s_waitcnt lgkmcnt(0)
	v_lshrrev_b32_e32 v85, 16, v44
	v_lshrrev_b32_e32 v83, 16, v21
	v_mul_lo_u16 v25, 0x5a, v25
	v_lshlrev_b32_e32 v26, 3, v46
	v_sub_nc_u16 v65, v71, v25
	global_load_dwordx2 v[27:28], v26, s[2:3] offset:348
	v_lshlrev_b16 v25, 3, v65
	v_and_b32_e32 v25, 0xffff, v25
	v_add_co_u32 v25, s0, s2, v25
	v_add_co_ci_u32_e64 v26, null, s3, 0, s0
	v_cmp_lt_u16_e64 s0, 8, v54
	global_load_dwordx2 v[25:26], v[25:26], off offset:348
	s_waitcnt vmcnt(0)
	v_cndmask_b32_e64 v69, 0, 0x10e, s0
	s_barrier
	buffer_gl0_inv
	v_add_co_u32 v41, s0, s2, v41
	v_add_lshl_u32 v70, v45, v69, 2
	v_add_lshl_u32 v69, v39, v46, 2
	v_add_co_ci_u32_e64 v42, null, s3, 0, s0
	v_mul_f16_sdwa v39, v76, v23 dst_sel:DWORD dst_unused:UNUSED_PAD src0_sel:DWORD src1_sel:WORD_1
	v_mul_f16_sdwa v45, v22, v23 dst_sel:DWORD dst_unused:UNUSED_PAD src0_sel:DWORD src1_sel:WORD_1
	;; [unrolled: 1-line block ×4, first 2 shown]
	v_fma_f16 v22, v22, v23, -v39
	v_fmac_f16_e32 v45, v76, v23
	v_fma_f16 v35, v35, v24, -v46
	v_fmac_f16_e32 v86, v79, v24
	v_add_f16_e32 v39, v31, v22
	v_add_f16_e32 v79, v75, v45
	;; [unrolled: 1-line block ×3, first 2 shown]
	v_sub_f16_e32 v76, v45, v86
	v_add_f16_e32 v45, v45, v86
	v_sub_f16_e32 v22, v22, v35
	v_add_f16_e32 v35, v39, v35
	v_fma_f16 v31, -0.5, v46, v31
	v_add_f16_e32 v39, v79, v86
	v_fmac_f16_e32 v75, -0.5, v45
	v_mul_f16_sdwa v45, v81, v29 dst_sel:DWORD dst_unused:UNUSED_PAD src0_sel:DWORD src1_sel:WORD_1
	v_mul_f16_sdwa v46, v33, v29 dst_sel:DWORD dst_unused:UNUSED_PAD src0_sel:DWORD src1_sel:WORD_1
	;; [unrolled: 1-line block ×4, first 2 shown]
	v_fmamk_f16 v87, v76, 0x3aee, v31
	v_fmac_f16_e32 v31, 0xbaee, v76
	v_fmamk_f16 v76, v22, 0xbaee, v75
	v_fmac_f16_e32 v75, 0x3aee, v22
	v_pack_b32_f16 v22, v35, v39
	v_fma_f16 v33, v33, v29, -v45
	v_fmac_f16_e32 v46, v81, v29
	v_fma_f16 v35, v36, v30, -v79
	v_fmac_f16_e32 v86, v82, v30
	v_mul_f16_sdwa v36, v84, v27 dst_sel:DWORD dst_unused:UNUSED_PAD src0_sel:DWORD src1_sel:WORD_1
	v_mul_f16_sdwa v39, v34, v27 dst_sel:DWORD dst_unused:UNUSED_PAD src0_sel:DWORD src1_sel:WORD_1
	;; [unrolled: 1-line block ×4, first 2 shown]
	v_pack_b32_f16 v76, v87, v76
	v_pack_b32_f16 v31, v31, v75
	v_add_f16_e32 v75, v32, v33
	v_add_f16_e32 v81, v33, v35
	v_sub_f16_e32 v82, v46, v86
	v_add_f16_e32 v87, v80, v46
	v_add_f16_e32 v46, v46, v86
	v_sub_f16_e32 v33, v33, v35
	v_fma_f16 v34, v34, v27, -v36
	v_fmac_f16_e32 v39, v84, v27
	v_fma_f16 v36, v44, v28, -v45
	v_fmac_f16_e32 v79, v85, v28
	ds_write2_b32 v47, v22, v76 offset1:90
	v_add_f16_e32 v22, v75, v35
	v_fmac_f16_e32 v32, -0.5, v81
	v_add_f16_e32 v35, v87, v86
	v_fmac_f16_e32 v80, -0.5, v46
	v_mul_f16_sdwa v44, v43, v25 dst_sel:DWORD dst_unused:UNUSED_PAD src0_sel:DWORD src1_sel:WORD_1
	v_mul_f16_sdwa v45, v40, v25 dst_sel:DWORD dst_unused:UNUSED_PAD src0_sel:DWORD src1_sel:WORD_1
	;; [unrolled: 1-line block ×4, first 2 shown]
	v_sub_f16_e32 v84, v39, v79
	v_add_f16_e32 v85, v83, v39
	v_add_f16_e32 v39, v39, v79
	v_fmamk_f16 v86, v82, 0x3aee, v32
	v_fmac_f16_e32 v32, 0xbaee, v82
	v_fmamk_f16 v82, v33, 0xbaee, v80
	v_fmac_f16_e32 v80, 0x3aee, v33
	v_pack_b32_f16 v22, v22, v35
	v_fma_f16 v33, v40, v25, -v44
	v_fmac_f16_e32 v45, v43, v25
	v_fma_f16 v35, v37, v26, -v46
	v_fmac_f16_e32 v76, v38, v26
	v_add_f16_e32 v81, v34, v36
	v_add_f16_e32 v75, v21, v34
	v_sub_f16_e32 v34, v34, v36
	v_fmac_f16_e32 v83, -0.5, v39
	v_add_f16_e32 v43, v33, v35
	v_sub_f16_e32 v44, v45, v76
	v_add_f16_e32 v46, v78, v45
	v_add_f16_e32 v45, v45, v76
	v_fmac_f16_e32 v21, -0.5, v81
	v_fmamk_f16 v40, v34, 0xbaee, v83
	v_fmac_f16_e32 v83, 0x3aee, v34
	v_add_f16_e32 v34, v77, v33
	v_sub_f16_e32 v33, v33, v35
	v_fmac_f16_e32 v77, -0.5, v43
	v_fmac_f16_e32 v78, -0.5, v45
	v_add_f16_e32 v36, v75, v36
	v_add_f16_e32 v37, v85, v79
	v_fmamk_f16 v39, v84, 0x3aee, v21
	v_fmac_f16_e32 v21, 0xbaee, v84
	v_pack_b32_f16 v38, v86, v82
	v_add_f16_e32 v75, v34, v35
	v_add_f16_e32 v76, v46, v76
	v_fmamk_f16 v79, v44, 0x3aee, v77
	v_fmac_f16_e32 v77, 0xbaee, v44
	v_fmamk_f16 v82, v33, 0xbaee, v78
	v_fmac_f16_e32 v78, 0x3aee, v33
	v_pack_b32_f16 v32, v32, v80
	v_pack_b32_f16 v36, v36, v37
	;; [unrolled: 1-line block ×4, first 2 shown]
	ds_write_b32 v47, v31 offset:720
	ds_write2_b32 v70, v22, v38 offset1:90
	ds_write_b32 v70, v32 offset:720
	ds_write2_b32 v69, v36, v34 offset1:90
	ds_write_b32 v69, v21 offset:720
	s_and_saveexec_b32 s0, vcc_lo
	s_cbranch_execz .LBB0_15
; %bb.14:
	v_mov_b32_e32 v21, 2
	v_perm_b32 v22, v76, v75, 0x5040100
	v_perm_b32 v31, v82, v79, 0x5040100
	;; [unrolled: 1-line block ×3, first 2 shown]
	v_lshlrev_b32_sdwa v21, v21, v65 dst_sel:DWORD dst_unused:UNUSED_PAD src0_sel:DWORD src1_sel:WORD_0
	v_add_nc_u32_e32 v32, 0x800, v21
	ds_write2_b32 v32, v22, v31 offset0:28 offset1:118
	ds_write_b32 v21, v33 offset:2880
.LBB0_15:
	s_or_b32 exec_lo, exec_lo, s0
	v_add_nc_u32_e32 v21, 0x200, v47
	v_add_nc_u32_e32 v80, 0x800, v47
	;; [unrolled: 1-line block ×3, first 2 shown]
	s_waitcnt lgkmcnt(0)
	s_barrier
	buffer_gl0_inv
	ds_read2_b32 v[39:40], v47 offset1:81
	ds_read2_b32 v[37:38], v21 offset0:34 offset1:142
	ds_read2_b32 v[45:46], v80 offset0:28 offset1:109
	;; [unrolled: 1-line block ×3, first 2 shown]
	ds_read_b32 v83, v47 offset:2808
	s_and_saveexec_b32 s0, vcc_lo
	s_cbranch_execz .LBB0_17
; %bb.16:
	ds_read_b32 v75, v47 offset:972
	ds_read_b32 v79, v47 offset:2052
	;; [unrolled: 1-line block ×3, first 2 shown]
	s_waitcnt lgkmcnt(2)
	v_lshrrev_b32_e32 v76, 16, v75
	s_waitcnt lgkmcnt(1)
	v_lshrrev_b32_e32 v82, 16, v79
	;; [unrolled: 2-line block ×3, first 2 shown]
.LBB0_17:
	s_or_b32 exec_lo, exec_lo, s0
	v_lshlrev_b32_e32 v21, 3, v74
	v_lshlrev_b32_e32 v22, 3, v73
	global_load_dwordx2 v[33:34], v[41:42], off offset:1068
	s_waitcnt lgkmcnt(3)
	v_lshrrev_b32_e32 v42, 16, v38
	s_waitcnt lgkmcnt(1)
	v_lshrrev_b32_e32 v73, 16, v43
	s_clause 0x1
	global_load_dwordx2 v[35:36], v21, s[2:3] offset:1068
	global_load_dwordx2 v[31:32], v22, s[2:3] offset:1068
	v_add_co_u32 v21, s0, 0xffffffe5, v54
	v_add_co_ci_u32_e64 v22, null, 0, -1, s0
	v_lshrrev_b32_e32 v74, 16, v46
	v_cndmask_b32_e32 v21, v21, v71, vcc_lo
	v_lshrrev_b32_e32 v71, 16, v45
	v_cndmask_b32_e32 v22, v22, v72, vcc_lo
	v_lshrrev_b32_e32 v85, 16, v44
	v_lshrrev_b32_e32 v41, 16, v39
	s_waitcnt lgkmcnt(0)
	v_lshrrev_b32_e32 v90, 16, v83
	v_lshrrev_b32_e32 v72, 16, v40
	v_lshlrev_b64 v[21:22], 3, v[21:22]
	v_lshrrev_b32_e32 v84, 16, v37
	v_add_co_u32 v21, s0, s2, v21
	v_add_co_ci_u32_e64 v22, s0, s3, v22, s0
	global_load_dwordx2 v[21:22], v[21:22], off offset:1068
	s_waitcnt vmcnt(3)
	v_mul_f16_sdwa v86, v42, v33 dst_sel:DWORD dst_unused:UNUSED_PAD src0_sel:DWORD src1_sel:WORD_1
	v_mul_f16_sdwa v87, v38, v33 dst_sel:DWORD dst_unused:UNUSED_PAD src0_sel:DWORD src1_sel:WORD_1
	;; [unrolled: 1-line block ×4, first 2 shown]
	s_waitcnt vmcnt(1)
	v_mul_f16_sdwa v91, v85, v31 dst_sel:DWORD dst_unused:UNUSED_PAD src0_sel:DWORD src1_sel:WORD_1
	v_fma_f16 v38, v38, v33, -v86
	v_fmac_f16_e32 v87, v42, v33
	v_fma_f16 v42, v45, v34, -v88
	v_fmac_f16_e32 v89, v71, v34
	v_mul_f16_sdwa v45, v73, v35 dst_sel:DWORD dst_unused:UNUSED_PAD src0_sel:DWORD src1_sel:WORD_1
	v_mul_f16_sdwa v71, v43, v35 dst_sel:DWORD dst_unused:UNUSED_PAD src0_sel:DWORD src1_sel:WORD_1
	;; [unrolled: 1-line block ×7, first 2 shown]
	v_fma_f16 v43, v43, v35, -v45
	v_fmac_f16_e32 v71, v73, v35
	v_fma_f16 v45, v46, v36, -v86
	v_fmac_f16_e32 v88, v74, v36
	v_fma_f16 v44, v44, v31, -v91
	v_fmac_f16_e32 v92, v85, v31
	v_add_f16_e32 v73, v39, v38
	v_add_f16_e32 v74, v38, v42
	;; [unrolled: 1-line block ×4, first 2 shown]
	v_fma_f16 v46, v83, v32, -v93
	v_fmac_f16_e32 v94, v90, v32
	v_sub_f16_e32 v83, v87, v89
	v_sub_f16_e32 v38, v38, v42
	v_add_f16_e32 v42, v73, v42
	v_fma_f16 v39, -0.5, v74, v39
	v_add_f16_e32 v73, v85, v89
	v_fmac_f16_e32 v41, -0.5, v86
	v_add_f16_e32 v74, v40, v43
	v_add_f16_e32 v85, v43, v45
	v_sub_f16_e32 v86, v71, v88
	v_add_f16_e32 v87, v72, v71
	v_add_f16_e32 v71, v71, v88
	;; [unrolled: 1-line block ×4, first 2 shown]
	v_sub_f16_e32 v43, v43, v45
	v_add_f16_e32 v90, v44, v46
	v_sub_f16_e32 v44, v44, v46
	v_fmamk_f16 v95, v83, 0x3aee, v39
	v_fmac_f16_e32 v39, 0xbaee, v83
	v_fmamk_f16 v83, v38, 0xbaee, v41
	v_fmac_f16_e32 v41, 0x3aee, v38
	v_add_f16_e32 v38, v74, v45
	v_fmac_f16_e32 v40, -0.5, v85
	v_add_f16_e32 v45, v87, v88
	v_fmac_f16_e32 v72, -0.5, v71
	v_add_f16_e32 v46, v89, v46
	v_add_f16_e32 v71, v93, v94
	v_pack_b32_f16 v42, v42, v73
	s_waitcnt vmcnt(0)
	v_mul_f16_sdwa v73, v82, v21 dst_sel:DWORD dst_unused:UNUSED_PAD src0_sel:DWORD src1_sel:WORD_1
	v_mul_f16_sdwa v74, v79, v21 dst_sel:DWORD dst_unused:UNUSED_PAD src0_sel:DWORD src1_sel:WORD_1
	;; [unrolled: 1-line block ×4, first 2 shown]
	v_pack_b32_f16 v39, v39, v41
	v_pack_b32_f16 v38, v38, v45
	;; [unrolled: 1-line block ×3, first 2 shown]
	v_fma_f16 v45, v79, v21, -v73
	v_fmac_f16_e32 v74, v82, v21
	v_fma_f16 v46, v77, v22, -v85
	v_fmac_f16_e32 v87, v78, v22
	v_sub_f16_e32 v91, v92, v94
	v_add_f16_e32 v92, v92, v94
	v_fmamk_f16 v88, v86, 0x3aee, v40
	v_fmac_f16_e32 v40, 0xbaee, v86
	v_fmamk_f16 v86, v43, 0xbaee, v72
	v_fmac_f16_e32 v72, 0x3aee, v43
	v_add_f16_e32 v71, v45, v46
	v_add_f16_e32 v73, v74, v87
	v_fmac_f16_e32 v37, -0.5, v90
	v_fmac_f16_e32 v84, -0.5, v92
	v_pack_b32_f16 v40, v40, v72
	v_add_f16_e32 v72, v75, v45
	v_sub_f16_e32 v77, v74, v87
	v_add_f16_e32 v74, v76, v74
	v_fmac_f16_e32 v75, -0.5, v71
	v_sub_f16_e32 v45, v45, v46
	v_fmac_f16_e32 v76, -0.5, v73
	v_fmamk_f16 v43, v91, 0x3aee, v37
	v_fmamk_f16 v89, v44, 0xbaee, v84
	v_fmac_f16_e32 v84, 0x3aee, v44
	v_pack_b32_f16 v44, v95, v83
	v_fmac_f16_e32 v37, 0xbaee, v91
	v_add_f16_e32 v71, v72, v46
	v_add_f16_e32 v73, v74, v87
	v_fmamk_f16 v72, v77, 0x3aee, v75
	v_fmac_f16_e32 v75, 0xbaee, v77
	v_fmamk_f16 v74, v45, 0xbaee, v76
	v_fmac_f16_e32 v76, 0x3aee, v45
	ds_write_b32 v47, v44 offset:1080
	v_pack_b32_f16 v44, v88, v86
	v_pack_b32_f16 v43, v43, v89
	;; [unrolled: 1-line block ×3, first 2 shown]
	ds_write_b32 v47, v39 offset:2160
	ds_write2_b32 v47, v42, v38 offset1:81
	ds_write_b32 v47, v41 offset:648
	ds_write2_b32 v81, v44, v43 offset0:95 offset1:176
	ds_write2_b32 v80, v40, v37 offset0:109 offset1:190
	s_and_saveexec_b32 s0, vcc_lo
	s_cbranch_execz .LBB0_19
; %bb.18:
	v_perm_b32 v37, v73, v71, 0x5040100
	v_perm_b32 v38, v74, v72, 0x5040100
	;; [unrolled: 1-line block ×3, first 2 shown]
	ds_write_b32 v47, v37 offset:972
	ds_write_b32 v47, v38 offset:2052
	;; [unrolled: 1-line block ×3, first 2 shown]
.LBB0_19:
	s_or_b32 exec_lo, exec_lo, s0
	s_waitcnt lgkmcnt(0)
	s_barrier
	buffer_gl0_inv
	global_load_dword v41, v[8:9], off offset:1192
	v_add_co_u32 v37, s0, 0xca8, v10
	v_add_co_u32 v39, s1, 0x1000, v10
	v_add_co_ci_u32_e64 v38, s0, 0, v11, s0
	v_add_co_ci_u32_e64 v40, s0, 0, v11, s1
	s_clause 0x7
	global_load_dword v79, v[37:38], off offset:324
	global_load_dword v80, v[39:40], off offset:1952
	global_load_dword v81, v[37:38], off offset:1080
	global_load_dword v82, v[39:40], off offset:1304
	global_load_dword v83, v[37:38], off offset:1404
	global_load_dword v84, v[39:40], off offset:1628
	global_load_dword v85, v[37:38], off offset:648
	global_load_dword v86, v[37:38], off offset:1728
	ds_read2_b32 v[39:40], v47 offset1:81
	ds_read_b32 v87, v47 offset:2808
	s_waitcnt lgkmcnt(1)
	v_lshrrev_b32_e32 v42, 16, v39
	v_lshrrev_b32_e32 v88, 16, v40
	s_waitcnt lgkmcnt(0)
	v_lshrrev_b32_e32 v89, 16, v87
	s_waitcnt vmcnt(8)
	v_mul_f16_sdwa v43, v42, v41 dst_sel:DWORD dst_unused:UNUSED_PAD src0_sel:DWORD src1_sel:WORD_1
	v_mul_f16_sdwa v44, v39, v41 dst_sel:DWORD dst_unused:UNUSED_PAD src0_sel:DWORD src1_sel:WORD_1
	s_waitcnt vmcnt(7)
	v_mul_f16_sdwa v90, v88, v79 dst_sel:DWORD dst_unused:UNUSED_PAD src0_sel:DWORD src1_sel:WORD_1
	v_fma_f16 v39, v39, v41, -v43
	v_fmac_f16_e32 v44, v42, v41
	v_add_nc_u32_e32 v43, 0x400, v47
	v_mul_f16_sdwa v91, v40, v79 dst_sel:DWORD dst_unused:UNUSED_PAD src0_sel:DWORD src1_sel:WORD_1
	s_waitcnt vmcnt(6)
	v_mul_f16_sdwa v92, v89, v80 dst_sel:DWORD dst_unused:UNUSED_PAD src0_sel:DWORD src1_sel:WORD_1
	v_mul_f16_sdwa v93, v87, v80 dst_sel:DWORD dst_unused:UNUSED_PAD src0_sel:DWORD src1_sel:WORD_1
	v_pack_b32_f16 v41, v39, v44
	v_add_nc_u32_e32 v39, 0x200, v47
	v_add_nc_u32_e32 v44, 0x800, v47
	v_fma_f16 v40, v40, v79, -v90
	v_fmac_f16_e32 v91, v88, v79
	ds_write_b32 v47, v41
	ds_read2_b32 v[41:42], v39 offset0:34 offset1:142
	ds_read2_b32 v[45:46], v44 offset0:28 offset1:109
	ds_read2_b32 v[77:78], v43 offset0:95 offset1:176
	v_fma_f16 v79, v87, v80, -v92
	v_fmac_f16_e32 v93, v89, v80
	v_pack_b32_f16 v40, v40, v91
	v_add_nc_u32_e32 v80, 0x600, v47
	v_pack_b32_f16 v79, v79, v93
	s_waitcnt lgkmcnt(2)
	v_lshrrev_b32_e32 v87, 16, v42
	s_waitcnt vmcnt(5)
	v_mul_f16_sdwa v88, v42, v81 dst_sel:DWORD dst_unused:UNUSED_PAD src0_sel:DWORD src1_sel:WORD_1
	s_waitcnt lgkmcnt(1)
	v_lshrrev_b32_e32 v89, 16, v45
	s_waitcnt vmcnt(4)
	v_mul_f16_sdwa v90, v45, v82 dst_sel:DWORD dst_unused:UNUSED_PAD src0_sel:DWORD src1_sel:WORD_1
	;; [unrolled: 4-line block ×3, first 2 shown]
	v_lshrrev_b32_e32 v93, 16, v46
	s_waitcnt vmcnt(2)
	v_mul_f16_sdwa v94, v46, v84 dst_sel:DWORD dst_unused:UNUSED_PAD src0_sel:DWORD src1_sel:WORD_1
	v_lshrrev_b32_e32 v95, 16, v41
	s_waitcnt vmcnt(1)
	v_mul_f16_sdwa v96, v41, v85 dst_sel:DWORD dst_unused:UNUSED_PAD src0_sel:DWORD src1_sel:WORD_1
	v_lshrrev_b32_e32 v97, 16, v78
	v_mul_f16_sdwa v99, v87, v81 dst_sel:DWORD dst_unused:UNUSED_PAD src0_sel:DWORD src1_sel:WORD_1
	v_fmac_f16_e32 v88, v87, v81
	v_mul_f16_sdwa v87, v89, v82 dst_sel:DWORD dst_unused:UNUSED_PAD src0_sel:DWORD src1_sel:WORD_1
	v_fmac_f16_e32 v90, v89, v82
	;; [unrolled: 2-line block ×4, first 2 shown]
	v_mul_f16_sdwa v93, v95, v85 dst_sel:DWORD dst_unused:UNUSED_PAD src0_sel:DWORD src1_sel:WORD_1
	s_waitcnt vmcnt(0)
	v_mul_f16_sdwa v98, v78, v86 dst_sel:DWORD dst_unused:UNUSED_PAD src0_sel:DWORD src1_sel:WORD_1
	v_fmac_f16_e32 v96, v95, v85
	v_mul_f16_sdwa v95, v97, v86 dst_sel:DWORD dst_unused:UNUSED_PAD src0_sel:DWORD src1_sel:WORD_1
	v_fma_f16 v42, v42, v81, -v99
	v_fma_f16 v77, v77, v83, -v89
	;; [unrolled: 1-line block ×3, first 2 shown]
	v_fmac_f16_e32 v98, v97, v86
	v_fma_f16 v45, v45, v82, -v87
	v_fma_f16 v78, v78, v86, -v95
	;; [unrolled: 1-line block ×3, first 2 shown]
	v_pack_b32_f16 v42, v42, v88
	v_pack_b32_f16 v77, v77, v92
	v_pack_b32_f16 v41, v41, v96
	v_pack_b32_f16 v45, v45, v90
	v_pack_b32_f16 v78, v78, v98
	v_pack_b32_f16 v46, v46, v94
	ds_write2_b32 v43, v42, v77 offset0:14 offset1:95
	ds_write2_b32 v47, v40, v41 offset0:81 offset1:162
	;; [unrolled: 1-line block ×4, first 2 shown]
	s_and_saveexec_b32 s1, vcc_lo
	s_cbranch_execz .LBB0_21
; %bb.20:
	global_load_dword v40, v[37:38], off offset:972
	v_add_co_u32 v37, s0, 0x800, v37
	v_add_co_ci_u32_e64 v38, s0, 0, v38, s0
	s_clause 0x1
	global_load_dword v41, v[37:38], off offset:4
	global_load_dword v37, v[37:38], off offset:1084
	ds_read_b32 v38, v47 offset:972
	ds_read_b32 v42, v47 offset:2052
	ds_read_b32 v45, v47 offset:3132
	s_waitcnt lgkmcnt(2)
	v_lshrrev_b32_e32 v46, 16, v38
	s_waitcnt lgkmcnt(1)
	v_lshrrev_b32_e32 v78, 16, v42
	;; [unrolled: 2-line block ×3, first 2 shown]
	s_waitcnt vmcnt(2)
	v_mul_f16_sdwa v77, v46, v40 dst_sel:DWORD dst_unused:UNUSED_PAD src0_sel:DWORD src1_sel:WORD_1
	v_mul_f16_sdwa v80, v38, v40 dst_sel:DWORD dst_unused:UNUSED_PAD src0_sel:DWORD src1_sel:WORD_1
	v_fma_f16 v38, v38, v40, -v77
	v_fmac_f16_e32 v80, v46, v40
	s_waitcnt vmcnt(1)
	v_mul_f16_sdwa v77, v78, v41 dst_sel:DWORD dst_unused:UNUSED_PAD src0_sel:DWORD src1_sel:WORD_1
	v_mul_f16_sdwa v81, v42, v41 dst_sel:DWORD dst_unused:UNUSED_PAD src0_sel:DWORD src1_sel:WORD_1
	s_waitcnt vmcnt(0)
	v_mul_f16_sdwa v82, v79, v37 dst_sel:DWORD dst_unused:UNUSED_PAD src0_sel:DWORD src1_sel:WORD_1
	v_mul_f16_sdwa v83, v45, v37 dst_sel:DWORD dst_unused:UNUSED_PAD src0_sel:DWORD src1_sel:WORD_1
	v_fma_f16 v40, v42, v41, -v77
	v_fmac_f16_e32 v81, v78, v41
	v_fma_f16 v41, v45, v37, -v82
	v_fmac_f16_e32 v83, v79, v37
	v_pack_b32_f16 v37, v38, v80
	v_pack_b32_f16 v38, v40, v81
	;; [unrolled: 1-line block ×3, first 2 shown]
	ds_write_b32 v47, v37 offset:972
	ds_write_b32 v47, v38 offset:2052
	;; [unrolled: 1-line block ×3, first 2 shown]
.LBB0_21:
	s_or_b32 exec_lo, exec_lo, s1
	s_waitcnt lgkmcnt(0)
	s_barrier
	buffer_gl0_inv
	ds_read2_b32 v[41:42], v47 offset1:81
	ds_read2_b32 v[39:40], v39 offset0:34 offset1:142
	ds_read2_b32 v[37:38], v44 offset0:28 offset1:109
	;; [unrolled: 1-line block ×3, first 2 shown]
	ds_read_b32 v77, v47 offset:2808
	s_and_saveexec_b32 s0, vcc_lo
	s_cbranch_execz .LBB0_23
; %bb.22:
	ds_read_b32 v71, v47 offset:972
	ds_read_b32 v72, v47 offset:2052
	;; [unrolled: 1-line block ×3, first 2 shown]
	s_waitcnt lgkmcnt(2)
	v_lshrrev_b32_e32 v73, 16, v71
	s_waitcnt lgkmcnt(1)
	v_lshrrev_b32_e32 v74, 16, v72
	;; [unrolled: 2-line block ×3, first 2 shown]
.LBB0_23:
	s_or_b32 exec_lo, exec_lo, s0
	v_add_f16_e32 v45, v72, v75
	s_waitcnt lgkmcnt(2)
	v_pk_add_f16 v82, v40, v37
	v_pk_add_f16 v83, v40, v37 neg_lo:[0,1] neg_hi:[0,1]
	v_add_f16_e32 v46, v74, v76
	v_pk_add_f16 v78, v41, v40
	v_fma_f16 v45, -0.5, v45, v71
	v_sub_f16_e32 v81, v74, v76
	v_pk_fma_f16 v82, v82, 0.5, v41 op_sel_hi:[1,0,1] neg_lo:[1,0,0] neg_hi:[1,0,0]
	v_pk_mul_f16 v83, 0x3aee, v83 op_sel_hi:[0,1]
	v_fma_f16 v40, -0.5, v46, v73
	v_sub_f16_e32 v84, v72, v75
	s_waitcnt lgkmcnt(1)
	v_pk_add_f16 v79, v42, v43
	v_fmamk_f16 v46, v81, 0xbaee, v45
	v_fmac_f16_e32 v45, 0x3aee, v81
	v_pk_add_f16 v81, v82, v83 op_sel:[0,1] op_sel_hi:[1,0] neg_lo:[0,1] neg_hi:[0,1]
	v_pk_add_f16 v82, v82, v83 op_sel:[0,1] op_sel_hi:[1,0]
	v_pk_add_f16 v37, v78, v37
	v_pk_add_f16 v78, v43, v38
	v_pk_add_f16 v43, v43, v38 neg_lo:[0,1] neg_hi:[0,1]
	v_pk_add_f16 v80, v39, v44
	v_fmamk_f16 v41, v84, 0x3aee, v40
	v_fmac_f16_e32 v40, 0xbaee, v84
	s_waitcnt lgkmcnt(0)
	v_pk_add_f16 v84, v44, v77
	v_pk_add_f16 v44, v44, v77 neg_lo:[0,1] neg_hi:[0,1]
	v_bfi_b32 v83, 0xffff, v81, v82
	v_pk_fma_f16 v42, v78, 0.5, v42 op_sel_hi:[1,0,1] neg_lo:[1,0,0] neg_hi:[1,0,0]
	v_pk_mul_f16 v43, 0x3aee, v43 op_sel_hi:[0,1]
	v_pk_fma_f16 v39, v84, 0.5, v39 op_sel_hi:[1,0,1] neg_lo:[1,0,0] neg_hi:[1,0,0]
	v_pk_mul_f16 v44, 0x3aee, v44 op_sel_hi:[0,1]
	s_barrier
	buffer_gl0_inv
	ds_write2_b32 v60, v37, v83 offset1:1
	v_pk_add_f16 v37, v42, v43 op_sel:[0,1] op_sel_hi:[1,0] neg_lo:[0,1] neg_hi:[0,1]
	v_pk_add_f16 v42, v42, v43 op_sel:[0,1] op_sel_hi:[1,0]
	v_pk_add_f16 v78, v39, v44 op_sel:[0,1] op_sel_hi:[1,0] neg_lo:[0,1] neg_hi:[0,1]
	v_pk_add_f16 v39, v39, v44 op_sel:[0,1] op_sel_hi:[1,0]
	v_bfi_b32 v43, 0xffff, v82, v81
	v_pk_add_f16 v38, v79, v38
	v_bfi_b32 v44, 0xffff, v37, v42
	v_bfi_b32 v37, 0xffff, v42, v37
	v_pk_add_f16 v42, v80, v77
	v_bfi_b32 v77, 0xffff, v78, v39
	v_bfi_b32 v39, 0xffff, v39, v78
	ds_write_b32 v60, v43 offset:8
	ds_write2_b32 v61, v38, v44 offset1:1
	ds_write_b32 v61, v37 offset:8
	ds_write2_b32 v63, v42, v77 offset1:1
	ds_write_b32 v63, v39 offset:8
	s_and_saveexec_b32 s0, vcc_lo
	s_cbranch_execz .LBB0_25
; %bb.24:
	v_add_f16_e32 v37, v73, v74
	v_add_f16_e32 v38, v71, v72
	v_lshlrev_b32_e32 v39, 2, v62
	v_perm_b32 v42, v41, v46, 0x5040100
	v_add_f16_e32 v37, v37, v76
	v_add_f16_e32 v38, v38, v75
	v_pack_b32_f16 v37, v38, v37
	v_perm_b32 v38, v40, v45, 0x5040100
	ds_write2_b32 v39, v37, v42 offset1:1
	ds_write_b32 v39, v38 offset:8
.LBB0_25:
	s_or_b32 exec_lo, exec_lo, s0
	s_waitcnt lgkmcnt(0)
	s_barrier
	buffer_gl0_inv
	ds_read2_b32 v[37:38], v47 offset1:81
	ds_read2_b32 v[42:43], v47 offset0:162 offset1:243
	v_add_nc_u32_e32 v39, 0x400, v47
	v_add_nc_u32_e32 v44, 0x600, v47
	;; [unrolled: 1-line block ×3, first 2 shown]
	ds_read2_b32 v[60:61], v39 offset0:68 offset1:149
	ds_read2_b32 v[62:63], v44 offset0:102 offset1:183
	;; [unrolled: 1-line block ×3, first 2 shown]
	s_waitcnt lgkmcnt(0)
	s_barrier
	buffer_gl0_inv
	v_lshrrev_b32_e32 v74, 16, v38
	v_lshrrev_b32_e32 v75, 16, v42
	v_mul_f16_sdwa v77, v4, v38 dst_sel:DWORD dst_unused:UNUSED_PAD src0_sel:WORD_1 src1_sel:DWORD
	v_mul_f16_sdwa v78, v5, v42 dst_sel:DWORD dst_unused:UNUSED_PAD src0_sel:WORD_1 src1_sel:DWORD
	v_lshrrev_b32_e32 v76, 16, v43
	v_lshrrev_b32_e32 v80, 16, v60
	v_mul_f16_sdwa v86, v4, v74 dst_sel:DWORD dst_unused:UNUSED_PAD src0_sel:WORD_1 src1_sel:DWORD
	v_mul_f16_sdwa v87, v5, v75 dst_sel:DWORD dst_unused:UNUSED_PAD src0_sel:WORD_1 src1_sel:DWORD
	v_lshrrev_b32_e32 v81, 16, v61
	v_lshrrev_b32_e32 v82, 16, v62
	v_fma_f16 v74, v4, v74, -v77
	v_fma_f16 v75, v5, v75, -v78
	v_fmac_f16_e32 v86, v4, v38
	v_fmac_f16_e32 v87, v5, v42
	v_mul_f16_sdwa v4, v7, v80 dst_sel:DWORD dst_unused:UNUSED_PAD src0_sel:WORD_1 src1_sel:DWORD
	v_mul_f16_sdwa v5, v7, v60 dst_sel:DWORD dst_unused:UNUSED_PAD src0_sel:WORD_1 src1_sel:DWORD
	v_lshrrev_b32_e32 v84, 16, v71
	v_mul_f16_sdwa v77, v6, v76 dst_sel:DWORD dst_unused:UNUSED_PAD src0_sel:WORD_1 src1_sel:DWORD
	v_mul_f16_sdwa v38, v0, v81 dst_sel:DWORD dst_unused:UNUSED_PAD src0_sel:WORD_1 src1_sel:DWORD
	v_fmac_f16_e32 v4, v7, v60
	v_fma_f16 v5, v7, v80, -v5
	v_mul_f16_sdwa v7, v0, v61 dst_sel:DWORD dst_unused:UNUSED_PAD src0_sel:WORD_1 src1_sel:DWORD
	v_mul_f16_sdwa v42, v1, v82 dst_sel:DWORD dst_unused:UNUSED_PAD src0_sel:WORD_1 src1_sel:DWORD
	;; [unrolled: 1-line block ×3, first 2 shown]
	v_lshrrev_b32_e32 v83, 16, v63
	v_fmac_f16_e32 v77, v6, v43
	v_fmac_f16_e32 v38, v0, v61
	v_mul_f16_sdwa v43, v1, v62 dst_sel:DWORD dst_unused:UNUSED_PAD src0_sel:WORD_1 src1_sel:DWORD
	v_fma_f16 v0, v0, v81, -v7
	v_fmac_f16_e32 v42, v1, v62
	v_mul_f16_sdwa v7, v3, v71 dst_sel:DWORD dst_unused:UNUSED_PAD src0_sel:WORD_1 src1_sel:DWORD
	v_mul_f16_sdwa v62, v3, v84 dst_sel:DWORD dst_unused:UNUSED_PAD src0_sel:WORD_1 src1_sel:DWORD
	v_lshrrev_b32_e32 v85, 16, v72
	v_mul_f16_sdwa v60, v2, v83 dst_sel:DWORD dst_unused:UNUSED_PAD src0_sel:WORD_1 src1_sel:DWORD
	v_add_f16_e32 v61, v4, v42
	v_fma_f16 v7, v3, v84, -v7
	v_fmac_f16_e32 v62, v3, v71
	v_lshrrev_b32_e32 v44, 16, v37
	v_fma_f16 v6, v6, v76, -v79
	v_fma_f16 v1, v1, v82, -v43
	v_fmac_f16_e32 v60, v2, v63
	v_mul_f16_sdwa v43, v2, v63 dst_sel:DWORD dst_unused:UNUSED_PAD src0_sel:WORD_1 src1_sel:DWORD
	v_mul_f16_sdwa v63, v59, v85 dst_sel:DWORD dst_unused:UNUSED_PAD src0_sel:WORD_1 src1_sel:DWORD
	v_add_f16_e32 v76, v37, v87
	v_fma_f16 v61, -0.5, v61, v37
	v_sub_f16_e32 v78, v75, v7
	v_add_f16_e32 v80, v87, v62
	v_fma_f16 v2, v2, v83, -v43
	v_fmac_f16_e32 v63, v59, v72
	v_add_f16_e32 v3, v76, v4
	v_fmamk_f16 v43, v78, 0xbb9c, v61
	v_sub_f16_e32 v71, v5, v1
	v_sub_f16_e32 v76, v87, v4
	v_sub_f16_e32 v79, v62, v42
	v_mul_f16_sdwa v72, v59, v72 dst_sel:DWORD dst_unused:UNUSED_PAD src0_sel:WORD_1 src1_sel:DWORD
	v_fmac_f16_e32 v37, -0.5, v80
	v_fmac_f16_e32 v61, 0x3b9c, v78
	v_add_f16_e32 v81, v44, v75
	v_add_f16_e32 v3, v3, v42
	v_fmac_f16_e32 v43, 0xb8b4, v71
	v_add_f16_e32 v76, v76, v79
	v_fma_f16 v59, v59, v85, -v72
	v_fmamk_f16 v72, v71, 0x3b9c, v37
	v_sub_f16_e32 v79, v4, v87
	v_sub_f16_e32 v80, v42, v62
	v_fmac_f16_e32 v61, 0x38b4, v71
	v_add_f16_e32 v82, v5, v1
	v_fmac_f16_e32 v37, 0xbb9c, v71
	v_add_f16_e32 v71, v81, v5
	v_add_f16_e32 v3, v3, v62
	v_fmac_f16_e32 v72, 0xb8b4, v78
	v_add_f16_e32 v79, v79, v80
	v_fma_f16 v80, -0.5, v82, v44
	v_sub_f16_e32 v62, v87, v62
	v_fmac_f16_e32 v37, 0x38b4, v78
	v_add_f16_e32 v71, v71, v1
	v_add_f16_e32 v78, v75, v7
	v_fmac_f16_e32 v43, 0x34f2, v76
	v_fmac_f16_e32 v61, 0x34f2, v76
	v_fmamk_f16 v76, v62, 0x3b9c, v80
	v_sub_f16_e32 v4, v4, v42
	v_sub_f16_e32 v81, v7, v1
	v_fmac_f16_e32 v44, -0.5, v78
	v_add_f16_e32 v71, v71, v7
	v_fmac_f16_e32 v80, 0xbb9c, v62
	v_sub_f16_e32 v1, v1, v7
	v_add_f16_e32 v7, v86, v77
	v_sub_f16_e32 v42, v75, v5
	v_sub_f16_e32 v5, v5, v75
	v_fmac_f16_e32 v76, 0x38b4, v4
	v_fmamk_f16 v78, v4, 0xbb9c, v44
	v_fmac_f16_e32 v80, 0xb8b4, v4
	v_fmac_f16_e32 v44, 0x3b9c, v4
	v_add_f16_e32 v4, v7, v38
	v_add_f16_e32 v42, v42, v81
	;; [unrolled: 1-line block ×4, first 2 shown]
	v_fmac_f16_e32 v78, 0x38b4, v62
	v_fmac_f16_e32 v44, 0xb8b4, v62
	v_add_f16_e32 v4, v4, v60
	v_add_f16_e32 v7, v77, v63
	v_fmac_f16_e32 v76, 0x34f2, v42
	v_fmac_f16_e32 v80, 0x34f2, v42
	v_fma_f16 v5, -0.5, v5, v86
	v_sub_f16_e32 v42, v6, v59
	v_fmac_f16_e32 v78, 0x34f2, v1
	v_fmac_f16_e32 v44, 0x34f2, v1
	v_add_f16_e32 v1, v4, v63
	v_sub_f16_e32 v4, v0, v2
	v_fmac_f16_e32 v86, -0.5, v7
	v_fmamk_f16 v7, v42, 0xbb9c, v5
	v_sub_f16_e32 v62, v77, v38
	v_sub_f16_e32 v75, v63, v60
	v_fmac_f16_e32 v5, 0x3b9c, v42
	v_fmac_f16_e32 v72, 0x34f2, v79
	;; [unrolled: 1-line block ×3, first 2 shown]
	v_fmamk_f16 v79, v4, 0x3b9c, v86
	v_fmac_f16_e32 v86, 0xbb9c, v4
	v_sub_f16_e32 v81, v38, v77
	v_sub_f16_e32 v82, v60, v63
	v_fmac_f16_e32 v7, 0xb8b4, v4
	v_add_f16_e32 v62, v62, v75
	v_fmac_f16_e32 v5, 0x38b4, v4
	v_add_f16_e32 v4, v0, v2
	v_fmac_f16_e32 v79, 0xb8b4, v42
	v_fmac_f16_e32 v86, 0x38b4, v42
	v_add_f16_e32 v42, v6, v59
	v_add_f16_e32 v75, v81, v82
	v_fmac_f16_e32 v7, 0x34f2, v62
	v_fmac_f16_e32 v5, 0x34f2, v62
	v_fma_f16 v4, -0.5, v4, v74
	v_sub_f16_e32 v62, v77, v63
	v_add_f16_e32 v63, v74, v6
	v_sub_f16_e32 v38, v38, v60
	v_fmac_f16_e32 v74, -0.5, v42
	v_fmac_f16_e32 v79, 0x34f2, v75
	v_fmac_f16_e32 v86, 0x34f2, v75
	v_fmamk_f16 v42, v62, 0x3b9c, v4
	v_sub_f16_e32 v60, v6, v0
	v_sub_f16_e32 v75, v59, v2
	v_fmamk_f16 v77, v38, 0xbb9c, v74
	v_sub_f16_e32 v6, v0, v6
	v_sub_f16_e32 v81, v2, v59
	v_fmac_f16_e32 v74, 0x3b9c, v38
	v_fmac_f16_e32 v4, 0xbb9c, v62
	;; [unrolled: 1-line block ×3, first 2 shown]
	v_add_f16_e32 v60, v60, v75
	v_fmac_f16_e32 v77, 0x38b4, v62
	v_add_f16_e32 v6, v6, v81
	v_fmac_f16_e32 v74, 0xb8b4, v62
	;; [unrolled: 2-line block ×3, first 2 shown]
	v_fmac_f16_e32 v42, 0x34f2, v60
	v_fmac_f16_e32 v77, 0x34f2, v6
	;; [unrolled: 1-line block ×3, first 2 shown]
	v_add_f16_e32 v0, v0, v2
	v_fmac_f16_e32 v4, 0x34f2, v60
	v_mul_f16_e32 v2, 0xb8b4, v42
	v_mul_f16_e32 v42, 0x3a79, v42
	;; [unrolled: 1-line block ×6, first 2 shown]
	v_add_f16_e32 v0, v0, v59
	v_mul_f16_e32 v59, 0xb8b4, v4
	v_mul_f16_e32 v4, 0xba79, v4
	v_fmac_f16_e32 v2, 0x3a79, v7
	v_fmac_f16_e32 v42, 0x38b4, v7
	;; [unrolled: 1-line block ×8, first 2 shown]
	v_add_f16_e32 v60, v3, v1
	v_add_f16_e32 v62, v43, v2
	v_add_f16_e32 v5, v71, v0
	v_add_f16_e32 v7, v76, v42
	v_add_f16_e32 v63, v72, v6
	v_add_f16_e32 v75, v37, v38
	v_add_f16_e32 v79, v78, v77
	v_add_f16_e32 v82, v44, v74
	v_add_f16_e32 v81, v61, v59
	v_add_f16_e32 v83, v80, v4
	v_sub_f16_e32 v1, v3, v1
	v_sub_f16_e32 v0, v71, v0
	;; [unrolled: 1-line block ×10, first 2 shown]
	v_pack_b32_f16 v4, v60, v5
	v_pack_b32_f16 v5, v62, v7
	;; [unrolled: 1-line block ×10, first 2 shown]
	ds_write2_b32 v58, v4, v5 offset1:3
	ds_write2_b32 v58, v7, v59 offset0:6 offset1:9
	ds_write2_b32 v58, v60, v0 offset0:12 offset1:15
	;; [unrolled: 1-line block ×4, first 2 shown]
	v_add_nc_u32_e32 v0, 0x200, v47
	s_waitcnt lgkmcnt(0)
	s_barrier
	buffer_gl0_inv
	ds_read2_b32 v[2:3], v47 offset1:81
	ds_read2_b32 v[0:1], v0 offset0:34 offset1:142
	ds_read2_b32 v[6:7], v73 offset0:28 offset1:109
	;; [unrolled: 1-line block ×3, first 2 shown]
	ds_read_b32 v39, v47 offset:2808
	s_and_saveexec_b32 s0, vcc_lo
	s_cbranch_execz .LBB0_27
; %bb.26:
	ds_read_b32 v37, v47 offset:972
	ds_read_b32 v46, v47 offset:2052
	;; [unrolled: 1-line block ×3, first 2 shown]
	s_waitcnt lgkmcnt(2)
	v_lshrrev_b32_e32 v38, 16, v37
	s_waitcnt lgkmcnt(1)
	v_lshrrev_b32_e32 v41, 16, v46
	;; [unrolled: 2-line block ×3, first 2 shown]
.LBB0_27:
	s_or_b32 exec_lo, exec_lo, s0
	s_waitcnt lgkmcnt(3)
	v_lshrrev_b32_e32 v43, 16, v1
	s_waitcnt lgkmcnt(2)
	v_lshrrev_b32_e32 v44, 16, v6
	;; [unrolled: 2-line block ×3, first 2 shown]
	v_mul_f16_sdwa v71, v19, v1 dst_sel:DWORD dst_unused:UNUSED_PAD src0_sel:WORD_1 src1_sel:DWORD
	v_lshrrev_b32_e32 v60, 16, v7
	v_mul_f16_sdwa v62, v19, v43 dst_sel:DWORD dst_unused:UNUSED_PAD src0_sel:WORD_1 src1_sel:DWORD
	v_mul_f16_sdwa v73, v20, v44 dst_sel:DWORD dst_unused:UNUSED_PAD src0_sel:WORD_1 src1_sel:DWORD
	v_lshrrev_b32_e32 v63, 16, v5
	s_waitcnt lgkmcnt(0)
	v_lshrrev_b32_e32 v72, 16, v39
	v_lshrrev_b32_e32 v42, 16, v2
	v_fmac_f16_e32 v62, v19, v1
	v_mul_f16_sdwa v1, v20, v6 dst_sel:DWORD dst_unused:UNUSED_PAD src0_sel:WORD_1 src1_sel:DWORD
	v_fma_f16 v19, v19, v43, -v71
	v_mul_f16_sdwa v43, v17, v59 dst_sel:DWORD dst_unused:UNUSED_PAD src0_sel:WORD_1 src1_sel:DWORD
	v_fmac_f16_e32 v73, v20, v6
	v_mul_f16_sdwa v6, v17, v4 dst_sel:DWORD dst_unused:UNUSED_PAD src0_sel:WORD_1 src1_sel:DWORD
	v_fma_f16 v1, v20, v44, -v1
	v_mul_f16_sdwa v20, v18, v60 dst_sel:DWORD dst_unused:UNUSED_PAD src0_sel:WORD_1 src1_sel:DWORD
	;; [unrolled: 4-line block ×6, first 2 shown]
	v_fmac_f16_e32 v15, v13, v46
	v_mul_f16_sdwa v44, v14, v45 dst_sel:DWORD dst_unused:UNUSED_PAD src0_sel:WORD_1 src1_sel:DWORD
	v_fma_f16 v13, v13, v41, -v39
	v_add_f16_e32 v39, v62, v73
	v_fmac_f16_e32 v16, v14, v45
	v_add_f16_e32 v41, v2, v62
	v_fma_f16 v14, v14, v40, -v44
	v_add_f16_e32 v40, v19, v1
	v_fma_f16 v2, -0.5, v39, v2
	v_sub_f16_e32 v39, v19, v1
	v_add_f16_e32 v19, v42, v19
	v_lshrrev_b32_e32 v58, 16, v3
	v_fmac_f16_e32 v42, -0.5, v40
	v_sub_f16_e32 v40, v62, v73
	v_fmamk_f16 v44, v39, 0xbaee, v2
	v_add_f16_e32 v1, v19, v1
	v_add_f16_e32 v19, v43, v20
	v_fmac_f16_e32 v2, 0x3aee, v39
	v_fmamk_f16 v39, v40, 0x3aee, v42
	v_add_f16_e32 v45, v3, v43
	v_fmac_f16_e32 v42, 0xbaee, v40
	v_add_f16_e32 v40, v6, v4
	v_fmac_f16_e32 v3, -0.5, v19
	v_sub_f16_e32 v19, v6, v4
	v_add_f16_e32 v6, v58, v6
	v_add_f16_e32 v45, v45, v20
	v_fmac_f16_e32 v58, -0.5, v40
	v_sub_f16_e32 v20, v43, v20
	v_lshrrev_b32_e32 v61, 16, v0
	v_add_f16_e32 v4, v6, v4
	v_add_f16_e32 v6, v17, v18
	v_fmamk_f16 v40, v19, 0xbaee, v3
	v_fmac_f16_e32 v3, 0x3aee, v19
	v_fmamk_f16 v19, v20, 0x3aee, v58
	v_add_f16_e32 v43, v0, v17
	v_fmac_f16_e32 v58, 0xbaee, v20
	v_add_f16_e32 v20, v7, v5
	v_fmac_f16_e32 v0, -0.5, v6
	v_sub_f16_e32 v6, v7, v5
	v_add_f16_e32 v43, v43, v18
	v_add_f16_e32 v7, v61, v7
	v_fmac_f16_e32 v61, -0.5, v20
	v_sub_f16_e32 v17, v17, v18
	v_fmamk_f16 v18, v6, 0xbaee, v0
	v_fmac_f16_e32 v0, 0x3aee, v6
	v_add_f16_e32 v6, v15, v16
	v_add_f16_e32 v41, v41, v73
	v_add_f16_e32 v5, v7, v5
	v_fmamk_f16 v7, v17, 0x3aee, v61
	v_fmac_f16_e32 v61, 0xbaee, v17
	v_add_f16_e32 v17, v13, v14
	v_add_f16_e32 v20, v37, v15
	v_fmac_f16_e32 v37, -0.5, v6
	v_sub_f16_e32 v6, v13, v14
	v_add_f16_e32 v46, v38, v13
	v_fmac_f16_e32 v38, -0.5, v17
	v_sub_f16_e32 v17, v15, v16
	v_pack_b32_f16 v1, v41, v1
	v_fmamk_f16 v15, v6, 0xbaee, v37
	v_fmac_f16_e32 v37, 0x3aee, v6
	v_pack_b32_f16 v6, v44, v39
	v_add_f16_e32 v13, v20, v16
	v_add_f16_e32 v14, v46, v14
	v_fmamk_f16 v16, v17, 0x3aee, v38
	v_fmac_f16_e32 v38, 0xbaee, v17
	s_barrier
	buffer_gl0_inv
	ds_write2_b32 v68, v1, v6 offset1:30
	v_pack_b32_f16 v1, v2, v42
	v_pack_b32_f16 v2, v45, v4
	;; [unrolled: 1-line block ×7, first 2 shown]
	ds_write_b32 v68, v1 offset:240
	ds_write2_b32 v67, v2, v4 offset1:30
	ds_write_b32 v67, v3 offset:240
	ds_write2_b32 v66, v5, v6 offset1:30
	ds_write_b32 v66, v0 offset:240
	s_and_saveexec_b32 s0, vcc_lo
	s_cbranch_execz .LBB0_29
; %bb.28:
	v_mov_b32_e32 v0, 2
	v_perm_b32 v1, v14, v13, 0x5040100
	v_perm_b32 v2, v16, v15, 0x5040100
	;; [unrolled: 1-line block ×3, first 2 shown]
	v_lshlrev_b32_sdwa v0, v0, v64 dst_sel:DWORD dst_unused:UNUSED_PAD src0_sel:DWORD src1_sel:WORD_0
	v_add_nc_u32_e32 v3, 0x800, v0
	ds_write2_b32 v3, v1, v2 offset0:208 offset1:238
	ds_write_b32 v0, v4 offset:3120
.LBB0_29:
	s_or_b32 exec_lo, exec_lo, s0
	v_add_nc_u32_e32 v0, 0x200, v47
	v_add_nc_u32_e32 v4, 0x800, v47
	;; [unrolled: 1-line block ×3, first 2 shown]
	s_waitcnt lgkmcnt(0)
	s_barrier
	buffer_gl0_inv
	ds_read2_b32 v[2:3], v47 offset1:81
	ds_read2_b32 v[0:1], v0 offset0:34 offset1:142
	ds_read2_b32 v[6:7], v4 offset0:28 offset1:109
	;; [unrolled: 1-line block ×3, first 2 shown]
	ds_read_b32 v17, v47 offset:2808
	s_and_saveexec_b32 s0, vcc_lo
	s_cbranch_execz .LBB0_31
; %bb.30:
	ds_read_b32 v13, v47 offset:972
	ds_read_b32 v15, v47 offset:2052
	;; [unrolled: 1-line block ×3, first 2 shown]
	s_waitcnt lgkmcnt(2)
	v_lshrrev_b32_e32 v14, 16, v13
	s_waitcnt lgkmcnt(1)
	v_lshrrev_b32_e32 v16, 16, v15
	;; [unrolled: 2-line block ×3, first 2 shown]
.LBB0_31:
	s_or_b32 exec_lo, exec_lo, s0
	s_waitcnt lgkmcnt(3)
	v_lshrrev_b32_e32 v18, 16, v1
	s_waitcnt lgkmcnt(2)
	v_lshrrev_b32_e32 v20, 16, v6
	;; [unrolled: 2-line block ×3, first 2 shown]
	v_lshrrev_b32_e32 v41, 16, v7
	v_mul_f16_sdwa v45, v23, v1 dst_sel:DWORD dst_unused:UNUSED_PAD src0_sel:WORD_1 src1_sel:DWORD
	v_mul_f16_sdwa v43, v23, v18 dst_sel:DWORD dst_unused:UNUSED_PAD src0_sel:WORD_1 src1_sel:DWORD
	v_mul_f16_sdwa v58, v24, v20 dst_sel:DWORD dst_unused:UNUSED_PAD src0_sel:WORD_1 src1_sel:DWORD
	v_lshrrev_b32_e32 v44, 16, v5
	s_waitcnt lgkmcnt(0)
	v_lshrrev_b32_e32 v46, 16, v17
	v_fma_f16 v18, v23, v18, -v45
	v_fmac_f16_e32 v43, v23, v1
	v_mul_f16_sdwa v1, v24, v6 dst_sel:DWORD dst_unused:UNUSED_PAD src0_sel:WORD_1 src1_sel:DWORD
	v_mul_f16_sdwa v23, v29, v40 dst_sel:DWORD dst_unused:UNUSED_PAD src0_sel:WORD_1 src1_sel:DWORD
	v_fmac_f16_e32 v58, v24, v6
	v_mul_f16_sdwa v6, v29, v4 dst_sel:DWORD dst_unused:UNUSED_PAD src0_sel:WORD_1 src1_sel:DWORD
	v_lshrrev_b32_e32 v19, 16, v2
	v_fma_f16 v1, v24, v20, -v1
	v_mul_f16_sdwa v20, v30, v41 dst_sel:DWORD dst_unused:UNUSED_PAD src0_sel:WORD_1 src1_sel:DWORD
	v_fmac_f16_e32 v23, v29, v4
	v_mul_f16_sdwa v4, v30, v7 dst_sel:DWORD dst_unused:UNUSED_PAD src0_sel:WORD_1 src1_sel:DWORD
	v_fma_f16 v6, v29, v40, -v6
	v_mul_f16_sdwa v24, v27, v44 dst_sel:DWORD dst_unused:UNUSED_PAD src0_sel:WORD_1 src1_sel:DWORD
	v_fmac_f16_e32 v20, v30, v7
	v_mul_f16_sdwa v7, v27, v5 dst_sel:DWORD dst_unused:UNUSED_PAD src0_sel:WORD_1 src1_sel:DWORD
	v_mul_f16_sdwa v29, v28, v46 dst_sel:DWORD dst_unused:UNUSED_PAD src0_sel:WORD_1 src1_sel:DWORD
	v_lshrrev_b32_e32 v39, 16, v3
	v_fmac_f16_e32 v24, v27, v5
	v_mul_f16_sdwa v5, v28, v17 dst_sel:DWORD dst_unused:UNUSED_PAD src0_sel:WORD_1 src1_sel:DWORD
	v_fma_f16 v7, v27, v44, -v7
	v_mul_f16_sdwa v27, v25, v16 dst_sel:DWORD dst_unused:UNUSED_PAD src0_sel:WORD_1 src1_sel:DWORD
	v_fmac_f16_e32 v29, v28, v17
	v_mul_f16_sdwa v17, v25, v15 dst_sel:DWORD dst_unused:UNUSED_PAD src0_sel:WORD_1 src1_sel:DWORD
	v_fma_f16 v5, v28, v46, -v5
	v_mul_f16_sdwa v28, v26, v38 dst_sel:DWORD dst_unused:UNUSED_PAD src0_sel:WORD_1 src1_sel:DWORD
	v_fmac_f16_e32 v27, v25, v15
	v_mul_f16_sdwa v15, v26, v37 dst_sel:DWORD dst_unused:UNUSED_PAD src0_sel:WORD_1 src1_sel:DWORD
	v_fma_f16 v16, v25, v16, -v17
	v_add_f16_e32 v17, v43, v58
	v_fmac_f16_e32 v28, v26, v37
	v_add_f16_e32 v25, v2, v43
	v_fma_f16 v26, v26, v38, -v15
	v_add_f16_e32 v15, v18, v1
	v_fma_f16 v2, -0.5, v17, v2
	v_sub_f16_e32 v17, v18, v1
	v_fma_f16 v4, v30, v41, -v4
	v_add_f16_e32 v18, v19, v18
	v_fmac_f16_e32 v19, -0.5, v15
	v_sub_f16_e32 v15, v43, v58
	v_fmamk_f16 v30, v17, 0xbaee, v2
	v_fmac_f16_e32 v2, 0x3aee, v17
	v_add_f16_e32 v17, v23, v20
	v_add_f16_e32 v1, v18, v1
	v_fmamk_f16 v37, v15, 0x3aee, v19
	v_add_f16_e32 v18, v3, v23
	v_fmac_f16_e32 v19, 0xbaee, v15
	v_add_f16_e32 v15, v6, v4
	v_fmac_f16_e32 v3, -0.5, v17
	v_sub_f16_e32 v17, v6, v4
	v_add_f16_e32 v6, v39, v6
	v_lshrrev_b32_e32 v42, 16, v0
	v_fmac_f16_e32 v39, -0.5, v15
	v_sub_f16_e32 v15, v23, v20
	v_add_f16_e32 v38, v18, v20
	v_add_f16_e32 v4, v6, v4
	;; [unrolled: 1-line block ×3, first 2 shown]
	v_fmamk_f16 v20, v17, 0xbaee, v3
	v_fmac_f16_e32 v3, 0x3aee, v17
	v_fmamk_f16 v23, v15, 0x3aee, v39
	v_add_f16_e32 v17, v0, v24
	v_fmac_f16_e32 v39, 0xbaee, v15
	v_add_f16_e32 v15, v7, v5
	v_fmac_f16_e32 v0, -0.5, v6
	v_sub_f16_e32 v6, v7, v5
	v_add_f16_e32 v7, v42, v7
	v_add_f16_e32 v25, v25, v58
	v_fmac_f16_e32 v42, -0.5, v15
	v_sub_f16_e32 v15, v24, v29
	v_fmamk_f16 v24, v6, 0xbaee, v0
	v_fmac_f16_e32 v0, 0x3aee, v6
	v_add_f16_e32 v6, v27, v28
	v_add_f16_e32 v40, v17, v29
	;; [unrolled: 1-line block ×3, first 2 shown]
	v_fmamk_f16 v7, v15, 0x3aee, v42
	v_fmac_f16_e32 v42, 0xbaee, v15
	v_add_f16_e32 v15, v16, v26
	v_add_f16_e32 v17, v13, v27
	v_fmac_f16_e32 v13, -0.5, v6
	v_sub_f16_e32 v6, v16, v26
	v_add_f16_e32 v16, v14, v16
	v_fmac_f16_e32 v14, -0.5, v15
	v_sub_f16_e32 v27, v27, v28
	v_add_f16_e32 v15, v17, v28
	v_fmamk_f16 v17, v6, 0xbaee, v13
	v_fmac_f16_e32 v13, 0x3aee, v6
	v_pack_b32_f16 v1, v25, v1
	v_pack_b32_f16 v6, v30, v37
	v_add_f16_e32 v16, v16, v26
	v_fmamk_f16 v18, v27, 0x3aee, v14
	v_fmac_f16_e32 v14, 0xbaee, v27
	s_barrier
	buffer_gl0_inv
	ds_write2_b32 v47, v1, v6 offset1:90
	v_pack_b32_f16 v1, v2, v19
	v_pack_b32_f16 v2, v38, v4
	;; [unrolled: 1-line block ×7, first 2 shown]
	ds_write_b32 v47, v1 offset:720
	ds_write2_b32 v70, v2, v4 offset1:90
	ds_write_b32 v70, v3 offset:720
	ds_write2_b32 v69, v5, v6 offset1:90
	ds_write_b32 v69, v0 offset:720
	s_and_saveexec_b32 s0, vcc_lo
	s_cbranch_execz .LBB0_33
; %bb.32:
	v_mov_b32_e32 v0, 2
	v_perm_b32 v1, v16, v15, 0x5040100
	v_perm_b32 v2, v18, v17, 0x5040100
	;; [unrolled: 1-line block ×3, first 2 shown]
	v_lshlrev_b32_sdwa v0, v0, v65 dst_sel:DWORD dst_unused:UNUSED_PAD src0_sel:DWORD src1_sel:WORD_0
	v_add_nc_u32_e32 v3, 0x800, v0
	ds_write2_b32 v3, v1, v2 offset0:28 offset1:118
	ds_write_b32 v0, v4 offset:2880
.LBB0_33:
	s_or_b32 exec_lo, exec_lo, s0
	v_add_nc_u32_e32 v0, 0x200, v47
	v_add_nc_u32_e32 v19, 0x800, v47
	;; [unrolled: 1-line block ×3, first 2 shown]
	s_waitcnt lgkmcnt(0)
	s_barrier
	buffer_gl0_inv
	ds_read2_b32 v[2:3], v47 offset1:81
	ds_read2_b32 v[0:1], v0 offset0:34 offset1:142
	ds_read2_b32 v[6:7], v19 offset0:28 offset1:109
	;; [unrolled: 1-line block ×3, first 2 shown]
	ds_read_b32 v23, v47 offset:2808
	s_and_saveexec_b32 s0, vcc_lo
	s_cbranch_execz .LBB0_35
; %bb.34:
	ds_read_b32 v15, v47 offset:972
	ds_read_b32 v17, v47 offset:2052
	ds_read_b32 v13, v47 offset:3132
	s_waitcnt lgkmcnt(2)
	v_lshrrev_b32_e32 v16, 16, v15
	s_waitcnt lgkmcnt(1)
	v_lshrrev_b32_e32 v18, 16, v17
	;; [unrolled: 2-line block ×3, first 2 shown]
.LBB0_35:
	s_or_b32 exec_lo, exec_lo, s0
	s_waitcnt lgkmcnt(3)
	v_lshrrev_b32_e32 v25, 16, v1
	s_waitcnt lgkmcnt(2)
	v_lshrrev_b32_e32 v26, 16, v6
	;; [unrolled: 2-line block ×3, first 2 shown]
	v_mul_f16_sdwa v39, v33, v1 dst_sel:DWORD dst_unused:UNUSED_PAD src0_sel:WORD_1 src1_sel:DWORD
	v_lshrrev_b32_e32 v29, 16, v7
	v_mul_f16_sdwa v37, v33, v25 dst_sel:DWORD dst_unused:UNUSED_PAD src0_sel:WORD_1 src1_sel:DWORD
	v_mul_f16_sdwa v41, v34, v26 dst_sel:DWORD dst_unused:UNUSED_PAD src0_sel:WORD_1 src1_sel:DWORD
	v_lshrrev_b32_e32 v38, 16, v5
	v_fma_f16 v25, v33, v25, -v39
	s_waitcnt lgkmcnt(0)
	v_lshrrev_b32_e32 v40, 16, v23
	v_fmac_f16_e32 v37, v33, v1
	v_mul_f16_sdwa v1, v34, v6 dst_sel:DWORD dst_unused:UNUSED_PAD src0_sel:WORD_1 src1_sel:DWORD
	v_mul_f16_sdwa v33, v35, v28 dst_sel:DWORD dst_unused:UNUSED_PAD src0_sel:WORD_1 src1_sel:DWORD
	v_fmac_f16_e32 v41, v34, v6
	v_mul_f16_sdwa v6, v35, v4 dst_sel:DWORD dst_unused:UNUSED_PAD src0_sel:WORD_1 src1_sel:DWORD
	v_lshrrev_b32_e32 v24, 16, v2
	v_fma_f16 v1, v34, v26, -v1
	v_mul_f16_sdwa v26, v36, v29 dst_sel:DWORD dst_unused:UNUSED_PAD src0_sel:WORD_1 src1_sel:DWORD
	v_fmac_f16_e32 v33, v35, v4
	v_mul_f16_sdwa v4, v36, v7 dst_sel:DWORD dst_unused:UNUSED_PAD src0_sel:WORD_1 src1_sel:DWORD
	v_fma_f16 v6, v35, v28, -v6
	v_mul_f16_sdwa v28, v31, v38 dst_sel:DWORD dst_unused:UNUSED_PAD src0_sel:WORD_1 src1_sel:DWORD
	v_fmac_f16_e32 v26, v36, v7
	v_mul_f16_sdwa v7, v31, v5 dst_sel:DWORD dst_unused:UNUSED_PAD src0_sel:WORD_1 src1_sel:DWORD
	;; [unrolled: 4-line block ×3, first 2 shown]
	v_fma_f16 v7, v31, v38, -v7
	v_add_f16_e32 v31, v37, v41
	v_fmac_f16_e32 v29, v32, v23
	v_add_f16_e32 v23, v2, v37
	v_fma_f16 v5, v32, v40, -v5
	v_add_f16_e32 v32, v25, v1
	v_fma_f16 v2, -0.5, v31, v2
	v_sub_f16_e32 v31, v25, v1
	v_add_f16_e32 v25, v24, v25
	v_lshrrev_b32_e32 v27, 16, v3
	v_fmac_f16_e32 v24, -0.5, v32
	v_sub_f16_e32 v32, v37, v41
	v_fmamk_f16 v34, v31, 0xbaee, v2
	v_add_f16_e32 v1, v25, v1
	v_add_f16_e32 v25, v33, v26
	v_fmac_f16_e32 v2, 0x3aee, v31
	v_fmamk_f16 v31, v32, 0x3aee, v24
	v_add_f16_e32 v35, v3, v33
	v_fmac_f16_e32 v24, 0xbaee, v32
	v_add_f16_e32 v32, v6, v4
	v_fmac_f16_e32 v3, -0.5, v25
	v_sub_f16_e32 v25, v6, v4
	v_add_f16_e32 v6, v27, v6
	v_add_f16_e32 v35, v35, v26
	v_fmac_f16_e32 v27, -0.5, v32
	v_sub_f16_e32 v26, v33, v26
	v_lshrrev_b32_e32 v30, 16, v0
	v_add_f16_e32 v4, v6, v4
	v_add_f16_e32 v6, v28, v29
	v_fmamk_f16 v32, v25, 0xbaee, v3
	v_fmac_f16_e32 v3, 0x3aee, v25
	v_fmamk_f16 v25, v26, 0x3aee, v27
	v_fmac_f16_e32 v27, 0xbaee, v26
	v_add_f16_e32 v26, v7, v5
	v_add_f16_e32 v33, v0, v28
	v_fmac_f16_e32 v0, -0.5, v6
	v_sub_f16_e32 v6, v7, v5
	v_add_f16_e32 v7, v30, v7
	v_fmac_f16_e32 v30, -0.5, v26
	v_sub_f16_e32 v26, v28, v29
	v_add_f16_e32 v23, v23, v41
	v_add_f16_e32 v33, v33, v29
	;; [unrolled: 1-line block ×3, first 2 shown]
	v_fmamk_f16 v28, v6, 0xbaee, v0
	v_fmac_f16_e32 v0, 0x3aee, v6
	v_pack_b32_f16 v6, v34, v31
	v_fmamk_f16 v7, v26, 0x3aee, v30
	v_fmac_f16_e32 v30, 0xbaee, v26
	v_pack_b32_f16 v2, v2, v24
	v_pack_b32_f16 v1, v23, v1
	;; [unrolled: 1-line block ×4, first 2 shown]
	ds_write_b32 v47, v6 offset:1080
	v_pack_b32_f16 v6, v32, v25
	v_pack_b32_f16 v7, v28, v7
	;; [unrolled: 1-line block ×4, first 2 shown]
	ds_write_b32 v47, v2 offset:2160
	ds_write2_b32 v47, v1, v4 offset1:81
	ds_write_b32 v47, v5 offset:648
	ds_write2_b32 v20, v6, v7 offset0:95 offset1:176
	ds_write2_b32 v19, v3, v0 offset0:109 offset1:190
	s_and_saveexec_b32 s0, vcc_lo
	s_cbranch_execz .LBB0_37
; %bb.36:
	v_mul_f16_sdwa v0, v21, v17 dst_sel:DWORD dst_unused:UNUSED_PAD src0_sel:WORD_1 src1_sel:DWORD
	v_mul_f16_sdwa v1, v22, v13 dst_sel:DWORD dst_unused:UNUSED_PAD src0_sel:WORD_1 src1_sel:DWORD
	;; [unrolled: 1-line block ×4, first 2 shown]
	v_fma_f16 v0, v21, v18, -v0
	v_fma_f16 v1, v22, v14, -v1
	v_fmac_f16_e32 v2, v21, v17
	v_fmac_f16_e32 v3, v22, v13
	v_add_f16_e32 v7, v16, v0
	v_add_f16_e32 v4, v0, v1
	v_sub_f16_e32 v0, v0, v1
	v_add_f16_e32 v6, v2, v3
	v_sub_f16_e32 v5, v2, v3
	v_add_f16_e32 v2, v15, v2
	v_fma_f16 v4, -0.5, v4, v16
	v_add_f16_e32 v1, v7, v1
	v_fma_f16 v6, -0.5, v6, v15
	v_add_f16_e32 v2, v2, v3
	v_fmamk_f16 v3, v5, 0xbaee, v4
	v_fmac_f16_e32 v4, 0x3aee, v5
	v_fmamk_f16 v5, v0, 0x3aee, v6
	v_fmac_f16_e32 v6, 0xbaee, v0
	v_pack_b32_f16 v0, v2, v1
	v_pack_b32_f16 v2, v5, v3
	;; [unrolled: 1-line block ×3, first 2 shown]
	ds_write_b32 v47, v0 offset:972
	ds_write_b32 v47, v1 offset:2052
	;; [unrolled: 1-line block ×3, first 2 shown]
.LBB0_37:
	s_or_b32 exec_lo, exec_lo, s0
	s_waitcnt lgkmcnt(0)
	s_barrier
	buffer_gl0_inv
	ds_read2_b32 v[4:5], v47 offset1:81
	v_add_nc_u32_e32 v0, 0x200, v47
	v_add_nc_u32_e32 v2, 0x800, v47
	v_mad_u64_u32 v[15:16], null, s8, v54, 0
	s_mov_b32 s4, 0x30abee4d
	ds_read2_b32 v[0:1], v0 offset0:34 offset1:142
	ds_read2_b32 v[2:3], v2 offset0:28 offset1:109
	s_mov_b32 s5, 0x3f543a27
	s_waitcnt lgkmcnt(2)
	v_lshrrev_b32_e32 v6, 16, v4
	v_mul_f16_sdwa v7, v56, v4 dst_sel:DWORD dst_unused:UNUSED_PAD src0_sel:WORD_1 src1_sel:DWORD
	v_mul_f16_sdwa v13, v56, v6 dst_sel:DWORD dst_unused:UNUSED_PAD src0_sel:WORD_1 src1_sel:DWORD
	v_fma_f16 v6, v56, v6, -v7
	s_waitcnt lgkmcnt(1)
	v_lshrrev_b32_e32 v17, 16, v1
	v_mul_f16_sdwa v14, v55, v1 dst_sel:DWORD dst_unused:UNUSED_PAD src0_sel:WORD_1 src1_sel:DWORD
	s_waitcnt lgkmcnt(0)
	v_lshrrev_b32_e32 v27, 16, v2
	v_fmac_f16_e32 v13, v56, v4
	v_cvt_f32_f16_e32 v4, v6
	v_mul_f16_sdwa v21, v55, v17 dst_sel:DWORD dst_unused:UNUSED_PAD src0_sel:WORD_1 src1_sel:DWORD
	v_fma_f16 v19, v55, v17, -v14
	v_mad_u64_u32 v[6:7], null, s10, v12, 0
	v_cvt_f32_f16_e32 v18, v13
	v_cvt_f64_f32_e32 v[13:14], v4
	v_cvt_f32_f16_e32 v4, v19
	v_mul_f16_sdwa v22, v57, v27 dst_sel:DWORD dst_unused:UNUSED_PAD src0_sel:WORD_1 src1_sel:DWORD
	v_fmac_f16_e32 v21, v55, v1
	v_cvt_f64_f32_e32 v[17:18], v18
	v_mov_b32_e32 v1, v7
	v_cvt_f64_f32_e32 v[19:20], v4
	v_fmac_f16_e32 v22, v57, v2
	v_mov_b32_e32 v4, v16
	v_cvt_f32_f16_e32 v7, v21
	v_cvt_f32_f16_e32 v16, v22
	v_mad_u64_u32 v[21:22], null, s11, v12, v[1:2]
	v_mad_u64_u32 v[22:23], null, s9, v54, v[4:5]
	v_cvt_f64_f32_e32 v[23:24], v7
	v_cvt_f64_f32_e32 v[25:26], v16
	v_mul_f16_sdwa v4, v57, v2 dst_sel:DWORD dst_unused:UNUSED_PAD src0_sel:WORD_1 src1_sel:DWORD
	v_mov_b32_e32 v7, v21
	v_mul_f64 v[12:13], v[13:14], s[4:5]
	v_mov_b32_e32 v16, v22
	v_fma_f16 v4, v57, v27, -v4
	v_mul_f64 v[17:18], v[17:18], s[4:5]
	v_lshlrev_b64 v[1:2], 2, v[6:7]
	v_mul_f64 v[6:7], v[19:20], s[4:5]
	v_lshlrev_b64 v[14:15], 2, v[15:16]
	v_cvt_f32_f16_e32 v4, v4
	v_add_co_u32 v16, s0, s6, v1
	v_add_co_ci_u32_e64 v21, s0, s7, v2, s0
	v_mul_f64 v[1:2], v[23:24], s[4:5]
	v_mul_f64 v[19:20], v[25:26], s[4:5]
	v_and_or_b32 v12, 0x1ff, v13, v12
	v_lshrrev_b32_e32 v22, 8, v13
	v_bfe_u32 v23, v13, 20, 11
	v_lshrrev_b32_e32 v13, 16, v13
	v_and_or_b32 v17, 0x1ff, v18, v17
	v_cmp_ne_u32_e64 s0, 0, v12
	v_lshrrev_b32_e32 v24, 8, v18
	v_bfe_u32 v25, v18, 20, 11
	v_and_or_b32 v6, 0x1ff, v7, v6
	v_bfe_u32 v28, v7, 20, 11
	v_cndmask_b32_e64 v12, 0, 1, s0
	v_cmp_ne_u32_e64 s0, 0, v17
	v_sub_nc_u32_e32 v29, 0x3f1, v25
	v_sub_nc_u32_e32 v26, 0x3f1, v23
	v_add_nc_u32_e32 v23, 0xfffffc10, v23
	v_and_or_b32 v12, 0xffe, v22, v12
	v_cndmask_b32_e64 v17, 0, 1, s0
	v_cmp_ne_u32_e64 s0, 0, v6
	v_lshrrev_b32_e32 v27, 8, v7
	v_and_or_b32 v1, 0x1ff, v2, v1
	v_sub_nc_u32_e32 v31, 0x3f1, v28
	v_and_or_b32 v17, 0xffe, v24, v17
	v_cndmask_b32_e64 v6, 0, 1, s0
	v_med3_i32 v24, v29, 0, 13
	v_cmp_ne_u32_e64 s0, 0, v12
	v_med3_i32 v22, v26, 0, 13
	v_or_b32_e32 v33, 0x1000, v17
	v_or_b32_e32 v29, 0x1000, v12
	v_lshl_or_b32 v32, v23, 12, v12
	v_cndmask_b32_e64 v12, 0, 1, s0
	v_cmp_ne_u32_e64 s0, 0, v1
	v_and_or_b32 v6, 0xffe, v27, v6
	v_med3_i32 v27, v31, 0, 13
	v_lshrrev_b32_e32 v31, v24, v33
	v_add_nc_u32_e32 v25, 0xfffffc10, v25
	v_cndmask_b32_e64 v1, 0, 1, s0
	v_lshrrev_b32_e32 v36, v22, v29
	v_cmp_ne_u32_e64 s0, 0, v17
	v_lshlrev_b32_e32 v24, v24, v31
	v_lshrrev_b32_e32 v26, 8, v2
	v_bfe_u32 v30, v2, 20, 11
	v_lshl_or_b32 v35, v25, 12, v17
	v_cndmask_b32_e64 v17, 0, 1, s0
	v_lshlrev_b32_e32 v22, v22, v36
	v_cmp_ne_u32_e64 s0, v24, v33
	v_sub_nc_u32_e32 v34, 0x3f1, v30
	v_and_or_b32 v1, 0xffe, v26, v1
	v_add_nc_u32_e32 v30, 0xfffffc10, v30
	v_lshl_or_b32 v17, v17, 9, 0x7c00
	v_cndmask_b32_e64 v24, 0, 1, s0
	v_cmp_ne_u32_e64 s0, v22, v29
	v_med3_i32 v26, v34, 0, 13
	v_or_b32_e32 v33, 0x1000, v1
	v_or_b32_e32 v29, 0x1000, v6
	;; [unrolled: 1-line block ×3, first 2 shown]
	v_cndmask_b32_e64 v22, 0, 1, s0
	v_cmp_gt_i32_e64 s0, 1, v25
	v_lshrrev_b32_e32 v31, v26, v33
	v_lshrrev_b32_e32 v18, 16, v18
	v_lshl_or_b32 v12, v12, 9, 0x7c00
	v_or_b32_e32 v22, v36, v22
	v_cndmask_b32_e64 v24, v35, v24, s0
	v_cmp_gt_i32_e64 s0, 1, v23
	v_lshlrev_b32_e32 v26, v26, v31
	v_and_or_b32 v19, 0x1ff, v20, v19
	v_lshrrev_b32_e32 v2, 16, v2
	v_and_b32_e32 v34, 7, v24
	v_cndmask_b32_e64 v22, v32, v22, s0
	v_cmp_ne_u32_e64 s0, v26, v33
	v_lshrrev_b32_e32 v24, 2, v24
	v_lshl_or_b32 v32, v30, 12, v1
	v_cmp_eq_u32_e64 s1, 3, v34
	v_and_b32_e32 v33, 7, v22
	v_cndmask_b32_e64 v26, 0, 1, s0
	v_cmp_lt_i32_e64 s0, 5, v34
	v_lshrrev_b32_e32 v22, 2, v22
	v_cmp_lt_i32_e64 s2, 5, v33
	v_cmp_eq_u32_e64 s3, 3, v33
	s_or_b32 s0, s1, s0
	v_or_b32_e32 v26, v31, v26
	v_add_co_ci_u32_e64 v24, s0, 0, v24, s0
	s_or_b32 s0, s3, s2
	v_add_co_ci_u32_e64 v22, s0, 0, v22, s0
	v_cmp_gt_i32_e64 s0, 31, v25
	v_cndmask_b32_e64 v24, 0x7c00, v24, s0
	v_cmp_gt_i32_e64 s0, 1, v30
	v_cndmask_b32_e64 v26, v32, v26, s0
	;; [unrolled: 2-line block ×3, first 2 shown]
	v_cmp_eq_u32_e64 s0, 0x40f, v25
	v_and_b32_e32 v25, 7, v26
	v_cndmask_b32_e64 v17, v24, v17, s0
	v_cmp_eq_u32_e64 s0, 0x40f, v23
	v_lshrrev_b32_e32 v24, v27, v29
	v_cmp_eq_u32_e64 s1, 3, v25
	v_and_or_b32 v17, 0x8000, v18, v17
	v_cndmask_b32_e64 v12, v22, v12, s0
	v_lshlrev_b32_e32 v22, v27, v24
	v_cmp_lt_i32_e64 s0, 5, v25
	v_add_nc_u32_e32 v18, 0xfffffc10, v28
	v_and_or_b32 v12, 0x8000, v13, v12
	v_and_b32_e32 v13, 0xffff, v17
	v_lshrrev_b32_e32 v17, 2, v26
	v_cmp_ne_u32_e64 s2, v22, v29
	s_or_b32 s0, s1, s0
	v_lshl_or_b32 v23, v12, 16, v13
	v_add_co_ci_u32_e64 v17, s0, 0, v17, s0
	v_cndmask_b32_e64 v22, 0, 1, s2
	v_cmp_ne_u32_e64 s0, 0, v1
	v_cvt_f64_f32_e32 v[12:13], v4
	v_cmp_ne_u32_e64 s2, 0, v19
	v_bfe_u32 v19, v20, 20, 11
	v_or_b32_e32 v22, v24, v22
	v_lshl_or_b32 v24, v18, 12, v6
	v_cndmask_b32_e64 v1, 0, 1, s0
	v_cmp_gt_i32_e64 s0, 1, v18
	v_lshl_or_b32 v1, v1, 9, 0x7c00
	v_cndmask_b32_e64 v4, v24, v22, s0
	v_add_co_u32 v14, s0, v16, v14
	v_add_co_ci_u32_e64 v15, s0, v21, v15, s0
	v_cmp_gt_i32_e64 s0, 31, v30
	global_store_dword v[14:15], v23, off
	v_cndmask_b32_e64 v16, 0x7c00, v17, s0
	v_and_b32_e32 v17, 7, v4
	v_cmp_eq_u32_e64 s0, 0x40f, v30
	v_mul_f64 v[12:13], v[12:13], s[4:5]
	v_lshrrev_b32_e32 v4, 2, v4
	v_cmp_eq_u32_e64 s1, 3, v17
	v_cndmask_b32_e64 v1, v16, v1, s0
	v_cmp_lt_i32_e64 s0, 5, v17
	v_cndmask_b32_e64 v16, 0, 1, s2
	v_lshrrev_b32_e32 v17, 8, v20
	s_mul_hi_u32 s2, s8, 0x10e
	s_or_b32 s0, s1, s0
	s_mul_i32 s1, s9, 0x10e
	v_add_co_ci_u32_e64 v4, s0, 0, v4, s0
	v_cmp_ne_u32_e64 s0, 0, v6
	v_and_or_b32 v16, 0xffe, v17, v16
	v_sub_nc_u32_e32 v17, 0x3f1, v19
	v_add_nc_u32_e32 v19, 0xfffffc10, v19
	s_add_i32 s3, s2, s1
	v_cndmask_b32_e64 v6, 0, 1, s0
	v_cmp_gt_i32_e64 s0, 31, v18
	v_or_b32_e32 v21, 0x1000, v16
	v_med3_i32 v17, v17, 0, 13
	v_bfe_u32 v22, v13, 20, 11
	v_lshl_or_b32 v6, v6, 9, 0x7c00
	v_cndmask_b32_e64 v4, 0x7c00, v4, s0
	v_cmp_eq_u32_e64 s0, 0x40f, v18
	v_and_or_b32 v18, 0x8000, v2, v1
	v_lshrrev_b32_e32 v1, v17, v21
	v_and_or_b32 v2, 0x1ff, v13, v12
	s_mul_i32 s2, s8, 0x10e
	v_cndmask_b32_e64 v4, v4, v6, s0
	v_lshrrev_b32_e32 v6, 16, v7
	v_lshrrev_b32_e32 v7, 16, v5
	v_lshlrev_b32_e32 v12, v17, v1
	v_cmp_ne_u32_e64 s0, 0, v2
	v_lshrrev_b32_e32 v17, 8, v13
	v_and_or_b32 v4, 0x8000, v6, v4
	v_mul_f16_sdwa v6, v53, v7 dst_sel:DWORD dst_unused:UNUSED_PAD src0_sel:WORD_1 src1_sel:DWORD
	s_lshl_b64 s[12:13], s[2:3], 2
	v_cndmask_b32_e64 v2, 0, 1, s0
	v_cmp_ne_u32_e64 s0, v12, v21
	v_sub_nc_u32_e32 v21, 0x3f1, v22
	v_fmac_f16_e32 v6, v53, v5
	v_mul_f16_sdwa v5, v53, v5 dst_sel:DWORD dst_unused:UNUSED_PAD src0_sel:WORD_1 src1_sel:DWORD
	v_and_or_b32 v17, 0xffe, v17, v2
	v_cndmask_b32_e64 v12, 0, 1, s0
	v_med3_i32 v21, v21, 0, 13
	v_cvt_f32_f16_e32 v6, v6
	v_cmp_gt_i32_e64 s0, 1, v19
	v_or_b32_e32 v23, 0x1000, v17
	v_or_b32_e32 v12, v1, v12
	v_fma_f16 v5, v53, v7, -v5
	v_cvt_f64_f32_e32 v[1:2], v6
	v_lshl_or_b32 v6, v19, 12, v16
	v_lshrrev_b32_e32 v24, v21, v23
	v_add_nc_u32_e32 v22, 0xfffffc10, v22
	v_cndmask_b32_e64 v12, v6, v12, s0
	v_lshlrev_b32_e32 v7, v21, v24
	v_and_b32_e32 v6, 0xffff, v18
	v_and_b32_e32 v18, 7, v12
	v_cmp_ne_u32_e64 s1, v7, v23
	v_lshl_or_b32 v21, v4, 16, v6
	v_cvt_f32_f16_e32 v4, v5
	v_cmp_lt_i32_e64 s0, 5, v18
	v_cndmask_b32_e64 v23, 0, 1, s1
	v_cmp_eq_u32_e64 s1, 3, v18
	v_cvt_f64_f32_e32 v[4:5], v4
	v_mul_f64 v[6:7], v[1:2], s[4:5]
	v_lshrrev_b32_e32 v1, 2, v12
	s_or_b32 s0, s1, s0
	v_or_b32_e32 v2, v24, v23
	v_lshl_or_b32 v12, v22, 12, v17
	v_add_co_ci_u32_e64 v1, s0, 0, v1, s0
	v_cmp_ne_u32_e64 s0, 0, v16
	v_cndmask_b32_e64 v16, 0, 1, s0
	v_cmp_gt_i32_e64 s0, 1, v22
	v_cndmask_b32_e64 v12, v12, v2, s0
	v_add_co_u32 v14, s0, v14, s12
	v_add_co_ci_u32_e64 v15, s0, s13, v15, s0
	v_cmp_gt_i32_e64 s0, 31, v19
	v_and_or_b32 v6, 0x1ff, v7, v6
	v_mul_f64 v[4:5], v[4:5], s[4:5]
	v_lshl_or_b32 v2, v16, 9, 0x7c00
	v_and_b32_e32 v16, 7, v12
	v_cndmask_b32_e64 v1, 0x7c00, v1, s0
	v_cmp_eq_u32_e64 s0, 0x40f, v19
	v_cmp_ne_u32_e64 s1, 0, v6
	v_lshrrev_b32_e32 v12, 2, v12
	v_lshrrev_b32_e32 v19, 16, v20
	v_lshrrev_b32_e32 v20, 8, v7
	v_cndmask_b32_e64 v18, v1, v2, s0
	v_add_nc_u32_e32 v1, 0x400, v47
	v_cmp_lt_i32_e64 s0, 5, v16
	v_cndmask_b32_e64 v6, 0, 1, s1
	v_cmp_eq_u32_e64 s1, 3, v16
	v_bfe_u32 v23, v7, 20, 11
	ds_read2_b32 v[1:2], v1 offset0:95 offset1:176
	v_and_or_b32 v16, 0x8000, v19, v18
	v_and_or_b32 v6, 0xffe, v20, v6
	s_or_b32 s0, s1, s0
	v_sub_nc_u32_e32 v18, 0x3f1, v23
	v_add_co_ci_u32_e64 v12, s0, 0, v12, s0
	v_cmp_gt_i32_e64 s0, 31, v22
	v_and_or_b32 v4, 0x1ff, v5, v4
	v_or_b32_e32 v19, 0x1000, v6
	v_med3_i32 v18, v18, 0, 13
	v_lshrrev_b32_e32 v24, 8, v5
	v_cndmask_b32_e64 v12, 0x7c00, v12, s0
	v_cmp_ne_u32_e64 s0, 0, v17
	v_bfe_u32 v26, v5, 20, 11
	v_lshrrev_b32_e32 v20, v18, v19
	v_and_b32_e32 v16, 0xffff, v16
	global_store_dword v[14:15], v21, off
	v_cndmask_b32_e64 v17, 0, 1, s0
	v_cmp_ne_u32_e64 s0, 0, v4
	s_waitcnt lgkmcnt(0)
	v_lshrrev_b32_e32 v25, 16, v1
	v_lshlrev_b32_e32 v18, v18, v20
	v_sub_nc_u32_e32 v27, 0x3f1, v26
	v_lshl_or_b32 v17, v17, 9, 0x7c00
	v_cndmask_b32_e64 v4, 0, 1, s0
	v_cmp_eq_u32_e64 s0, 0x40f, v22
	v_med3_i32 v27, v27, 0, 13
	v_and_or_b32 v4, 0xffe, v24, v4
	v_mul_f16_sdwa v24, v52, v25 dst_sel:DWORD dst_unused:UNUSED_PAD src0_sel:WORD_1 src1_sel:DWORD
	v_cndmask_b32_e64 v17, v12, v17, s0
	v_cmp_ne_u32_e64 s0, v18, v19
	v_add_nc_u32_e32 v18, 0xfffffc10, v23
	v_or_b32_e32 v22, 0x1000, v4
	v_fmac_f16_e32 v24, v52, v1
	v_mul_f16_sdwa v1, v52, v1 dst_sel:DWORD dst_unused:UNUSED_PAD src0_sel:WORD_1 src1_sel:DWORD
	v_cndmask_b32_e64 v12, 0, 1, s0
	v_lshl_or_b32 v28, v18, 12, v6
	v_lshrrev_b32_e32 v23, v27, v22
	v_cvt_f32_f16_e32 v19, v24
	v_lshrrev_b32_e32 v24, 16, v13
	v_or_b32_e32 v20, v20, v12
	v_cmp_gt_i32_e64 s0, 1, v18
	v_fma_f16 v1, v52, v25, -v1
	v_cvt_f64_f32_e32 v[12:13], v19
	v_lshlrev_b32_e32 v19, v27, v23
	v_and_or_b32 v17, 0x8000, v24, v17
	v_cndmask_b32_e64 v20, v28, v20, s0
	v_cvt_f32_f16_e32 v1, v1
	v_cmp_gt_i32_e64 s2, 31, v18
	v_cmp_ne_u32_e64 s0, v19, v22
	v_add_nc_u32_e32 v22, 0xfffffc10, v26
	v_lshl_or_b32 v16, v17, 16, v16
	v_and_b32_e32 v17, 7, v20
	v_cndmask_b32_e64 v19, 0, 1, s0
	v_lshl_or_b32 v21, v22, 12, v4
	v_add_co_u32 v14, s0, v14, s12
	v_cmp_gt_i32_e64 s1, 1, v22
	v_or_b32_e32 v19, v23, v19
	v_add_co_ci_u32_e64 v15, s0, s13, v15, s0
	v_cmp_lt_i32_e64 s0, 5, v17
	v_cndmask_b32_e64 v19, v21, v19, s1
	v_cmp_eq_u32_e64 s1, 3, v17
	global_store_dword v[14:15], v16, off
	v_lshrrev_b32_e32 v16, 2, v20
	v_mul_f64 v[12:13], v[12:13], s[4:5]
	v_and_b32_e32 v17, 7, v19
	s_or_b32 s0, s1, s0
	v_lshrrev_b32_e32 v19, 2, v19
	v_add_co_ci_u32_e64 v20, s0, 0, v16, s0
	v_cmp_ne_u32_e64 s0, 0, v6
	v_cmp_eq_u32_e64 s1, 3, v17
	v_cndmask_b32_e64 v6, 0, 1, s0
	v_cmp_lt_i32_e64 s0, 5, v17
	v_cvt_f64_f32_e32 v[16:17], v1
	v_cndmask_b32_e64 v1, 0x7c00, v20, s2
	v_lshrrev_b32_e32 v20, 16, v3
	v_lshl_or_b32 v6, v6, 9, 0x7c00
	s_or_b32 s0, s1, s0
	s_mul_hi_u32 s1, s8, 0xfffffe35
	v_add_co_ci_u32_e64 v19, s0, 0, v19, s0
	v_cmp_eq_u32_e64 s0, 0x40f, v18
	v_and_or_b32 v12, 0x1ff, v13, v12
	v_lshrrev_b32_e32 v18, 16, v7
	v_lshrrev_b32_e32 v7, 8, v13
	s_sub_i32 s1, s1, s8
	v_cndmask_b32_e64 v1, v1, v6, s0
	v_cmp_gt_i32_e64 s0, 31, v22
	s_mul_i32 s2, s8, 0xfffffe35
	v_and_or_b32 v1, 0x8000, v18, v1
	v_cndmask_b32_e64 v19, 0x7c00, v19, s0
	v_cmp_ne_u32_e64 s0, 0, v12
	v_bfe_u32 v12, v13, 20, 11
	v_and_b32_e32 v1, 0xffff, v1
	v_cndmask_b32_e64 v6, 0, 1, s0
	v_cmp_ne_u32_e64 s0, 0, v4
	v_sub_nc_u32_e32 v23, 0x3f1, v12
	v_add_nc_u32_e32 v12, 0xfffffc10, v12
	v_and_or_b32 v21, 0xffe, v7, v6
	v_mul_f64 v[6:7], v[16:17], s[4:5]
	v_cndmask_b32_e64 v4, 0, 1, s0
	v_mul_f16_sdwa v16, v51, v20 dst_sel:DWORD dst_unused:UNUSED_PAD src0_sel:WORD_1 src1_sel:DWORD
	v_med3_i32 v23, v23, 0, 13
	v_or_b32_e32 v17, 0x1000, v21
	v_cmp_eq_u32_e64 s0, 0x40f, v22
	v_lshl_or_b32 v4, v4, 9, 0x7c00
	v_fmac_f16_e32 v16, v51, v3
	v_lshrrev_b32_e32 v22, 16, v5
	v_mul_f16_sdwa v3, v51, v3 dst_sel:DWORD dst_unused:UNUSED_PAD src0_sel:WORD_1 src1_sel:DWORD
	v_cndmask_b32_e64 v18, v19, v4, s0
	v_lshrrev_b32_e32 v19, v23, v17
	v_cvt_f32_f16_e32 v4, v16
	s_mul_i32 s0, s9, 0xfffffe35
	v_fma_f16 v3, v51, v20, -v3
	s_add_i32 s3, s1, s0
	v_lshlrev_b32_e32 v16, v23, v19
	v_cvt_f64_f32_e32 v[4:5], v4
	v_and_or_b32 v18, 0x8000, v22, v18
	s_lshl_b64 s[6:7], s[2:3], 2
	v_cvt_f32_f16_e32 v3, v3
	v_cmp_ne_u32_e64 s0, v16, v17
	v_and_or_b32 v6, 0x1ff, v7, v6
	v_lshl_or_b32 v17, v12, 12, v21
	v_bfe_u32 v22, v7, 20, 11
	v_lshl_or_b32 v1, v18, 16, v1
	v_cndmask_b32_e64 v16, 0, 1, s0
	v_cmp_ne_u32_e64 s0, 0, v6
	v_or_b32_e32 v16, v19, v16
	v_cndmask_b32_e64 v6, 0, 1, s0
	v_lshrrev_b32_e32 v19, 8, v7
	v_cmp_gt_i32_e64 s0, 1, v12
	v_and_or_b32 v6, 0xffe, v19, v6
	v_cndmask_b32_e64 v16, v17, v16, s0
	v_sub_nc_u32_e32 v17, 0x3f1, v22
	v_mul_f64 v[4:5], v[4:5], s[4:5]
	v_add_co_u32 v14, s0, v14, s6
	v_or_b32_e32 v19, 0x1000, v6
	v_med3_i32 v17, v17, 0, 13
	v_and_b32_e32 v18, 7, v16
	v_add_co_ci_u32_e64 v15, s0, s7, v15, s0
	v_lshrrev_b32_e32 v23, v17, v19
	v_cmp_lt_i32_e64 s0, 5, v18
	v_cmp_eq_u32_e64 s1, 3, v18
	global_store_dword v[14:15], v1, off
	v_lshrrev_b32_e32 v1, 2, v16
	v_lshlrev_b32_e32 v16, v17, v23
	v_add_nc_u32_e32 v17, 0xfffffc10, v22
	s_or_b32 s0, s1, s0
	v_add_co_ci_u32_e64 v1, s0, 0, v1, s0
	v_cmp_ne_u32_e64 s0, v16, v19
	v_lshl_or_b32 v19, v17, 12, v6
	v_and_or_b32 v18, 0x1ff, v5, v4
	v_cvt_f64_f32_e32 v[3:4], v3
	v_lshrrev_b32_e32 v20, 8, v5
	v_cndmask_b32_e64 v16, 0, 1, s0
	v_cmp_gt_i32_e64 s0, 31, v12
	v_bfe_u32 v22, v5, 20, 11
	v_or_b32_e32 v16, v23, v16
	v_cndmask_b32_e64 v1, 0x7c00, v1, s0
	v_cmp_ne_u32_e64 s0, 0, v18
	v_cndmask_b32_e64 v18, 0, 1, s0
	v_cmp_ne_u32_e64 s0, 0, v21
	v_and_or_b32 v18, 0xffe, v20, v18
	v_cndmask_b32_e64 v21, 0, 1, s0
	v_cmp_gt_i32_e64 s0, 1, v17
	v_lshrrev_b32_e32 v20, 16, v0
	v_mul_f64 v[3:4], v[3:4], s[4:5]
	v_or_b32_e32 v24, 0x1000, v18
	v_lshl_or_b32 v21, v21, 9, 0x7c00
	v_cndmask_b32_e64 v16, v19, v16, s0
	v_sub_nc_u32_e32 v19, 0x3f1, v22
	v_cmp_eq_u32_e64 s0, 0x40f, v12
	v_mul_f16_sdwa v25, v50, v20 dst_sel:DWORD dst_unused:UNUSED_PAD src0_sel:WORD_1 src1_sel:DWORD
	v_add_nc_u32_e32 v22, 0xfffffc10, v22
	v_and_b32_e32 v23, 7, v16
	v_med3_i32 v19, v19, 0, 13
	v_cndmask_b32_e64 v1, v1, v21, s0
	v_lshrrev_b32_e32 v12, 2, v16
	v_fmac_f16_e32 v25, v50, v0
	v_cmp_lt_i32_e64 s0, 5, v23
	v_cmp_eq_u32_e64 s1, 3, v23
	v_lshrrev_b32_e32 v21, v19, v24
	v_lshrrev_b32_e32 v23, 16, v13
	v_cvt_f32_f16_e32 v13, v25
	v_mul_f16_sdwa v0, v50, v0 dst_sel:DWORD dst_unused:UNUSED_PAD src0_sel:WORD_1 src1_sel:DWORD
	s_or_b32 s0, s1, s0
	v_lshlrev_b32_e32 v16, v19, v21
	v_add_co_ci_u32_e64 v19, s0, 0, v12, s0
	v_cmp_ne_u32_e64 s0, 0, v6
	v_cvt_f64_f32_e32 v[12:13], v13
	v_and_or_b32 v3, 0x1ff, v4, v3
	v_and_or_b32 v1, 0x8000, v23, v1
	v_fma_f16 v0, v50, v20, -v0
	v_cndmask_b32_e64 v6, 0, 1, s0
	v_cmp_ne_u32_e64 s0, v16, v24
	v_lshrrev_b32_e32 v24, 16, v7
	v_and_b32_e32 v1, 0xffff, v1
	v_cvt_f32_f16_e32 v0, v0
	v_lshl_or_b32 v6, v6, 9, 0x7c00
	v_cndmask_b32_e64 v16, 0, 1, s0
	v_cmp_gt_i32_e64 s0, 31, v17
	v_or_b32_e32 v16, v21, v16
	v_cndmask_b32_e64 v19, 0x7c00, v19, s0
	v_cmp_eq_u32_e64 s0, 0x40f, v17
	v_lshl_or_b32 v21, v22, 12, v18
	v_cndmask_b32_e64 v17, v19, v6, s0
	v_cmp_gt_i32_e64 s0, 1, v22
	v_lshrrev_b32_e32 v19, 8, v4
	v_mul_f64 v[6:7], v[12:13], s[4:5]
	v_and_or_b32 v13, 0x8000, v24, v17
	v_cndmask_b32_e64 v16, v21, v16, s0
	v_cmp_ne_u32_e64 s0, 0, v3
	v_bfe_u32 v21, v4, 20, 11
	v_lshl_or_b32 v20, v13, 16, v1
	v_and_b32_e32 v25, 7, v16
	v_cndmask_b32_e64 v3, 0, 1, s0
	v_sub_nc_u32_e32 v12, 0x3f1, v21
	v_lshrrev_b32_e32 v16, 2, v16
	v_cmp_lt_i32_e64 s0, 5, v25
	v_and_or_b32 v3, 0xffe, v19, v3
	v_med3_i32 v12, v12, 0, 13
	v_cmp_eq_u32_e64 s1, 3, v25
	v_lshrrev_b32_e32 v25, 16, v2
	v_or_b32_e32 v17, 0x1000, v3
	s_or_b32 s0, s1, s0
	v_and_or_b32 v6, 0x1ff, v7, v6
	v_add_co_ci_u32_e64 v16, s0, 0, v16, s0
	v_lshrrev_b32_e32 v19, v12, v17
	v_cmp_gt_i32_e64 s0, 31, v22
	v_lshlrev_b32_e32 v1, v12, v19
	v_cndmask_b32_e64 v12, 0x7c00, v16, s0
	v_add_nc_u32_e32 v16, 0xfffffc10, v21
	v_bfe_u32 v21, v7, 20, 11
	v_cmp_ne_u32_e64 s0, v1, v17
	v_cvt_f64_f32_e32 v[0:1], v0
	v_lshrrev_b32_e32 v17, 8, v7
	v_lshrrev_b32_e32 v7, 16, v7
	v_cndmask_b32_e64 v13, 0, 1, s0
	v_cmp_ne_u32_e64 s0, 0, v6
	v_or_b32_e32 v13, v19, v13
	v_cndmask_b32_e64 v6, 0, 1, s0
	v_cmp_ne_u32_e64 s0, 0, v18
	v_lshl_or_b32 v19, v16, 12, v3
	v_and_or_b32 v17, 0xffe, v17, v6
	v_cndmask_b32_e64 v18, 0, 1, s0
	v_sub_nc_u32_e32 v6, 0x3f1, v21
	v_cmp_gt_i32_e64 s0, 1, v16
	v_lshl_or_b32 v18, v18, 9, 0x7c00
	v_med3_i32 v23, v6, 0, 13
	v_cndmask_b32_e64 v13, v19, v13, s0
	v_or_b32_e32 v19, 0x1000, v17
	v_cmp_eq_u32_e64 s0, 0x40f, v22
	v_mul_f64 v[0:1], v[0:1], s[4:5]
	v_and_b32_e32 v22, 7, v13
	v_lshrrev_b32_e32 v24, v23, v19
	v_cndmask_b32_e64 v12, v12, v18, s0
	v_lshrrev_b32_e32 v18, 16, v5
	v_add_co_u32 v5, s0, v14, s12
	v_add_co_ci_u32_e64 v6, s0, s13, v15, s0
	v_mul_f16_sdwa v14, v49, v25 dst_sel:DWORD dst_unused:UNUSED_PAD src0_sel:WORD_1 src1_sel:DWORD
	v_and_or_b32 v15, 0x8000, v18, v12
	v_lshlrev_b32_e32 v12, v23, v24
	v_cmp_lt_i32_e64 s0, 5, v22
	v_cmp_eq_u32_e64 s1, 3, v22
	v_lshrrev_b32_e32 v13, 2, v13
	v_fmac_f16_e32 v14, v49, v2
	v_cmp_ne_u32_e64 s2, v12, v19
	v_add_nc_u32_e32 v18, 0xfffffc10, v21
	s_or_b32 s0, s1, s0
	v_and_b32_e32 v15, 0xffff, v15
	v_add_co_ci_u32_e64 v19, s0, 0, v13, s0
	v_cndmask_b32_e64 v12, 0, 1, s2
	v_cvt_f32_f16_e32 v14, v14
	v_cmp_ne_u32_e64 s0, 0, v3
	v_and_or_b32 v0, 0x1ff, v1, v0
	v_bfe_u32 v22, v1, 20, 11
	v_or_b32_e32 v21, v24, v12
	v_cvt_f64_f32_e32 v[12:13], v14
	v_lshl_or_b32 v14, v18, 12, v17
	v_cndmask_b32_e64 v3, 0, 1, s0
	v_cmp_gt_i32_e64 s0, 1, v18
	v_mul_f16_sdwa v2, v49, v2 dst_sel:DWORD dst_unused:UNUSED_PAD src0_sel:WORD_1 src1_sel:DWORD
	v_lshl_or_b32 v3, v3, 9, 0x7c00
	v_cndmask_b32_e64 v14, v14, v21, s0
	v_cmp_ne_u32_e64 s0, 0, v0
	v_lshrrev_b32_e32 v21, 8, v1
	v_fma_f16 v2, v49, v25, -v2
	v_and_b32_e32 v23, 7, v14
	v_cndmask_b32_e64 v0, 0, 1, s0
	v_cmp_gt_i32_e64 s0, 31, v16
	v_lshrrev_b32_e32 v14, 2, v14
	v_cvt_f32_f16_e32 v2, v2
	v_cmp_eq_u32_e64 s1, 3, v23
	v_and_or_b32 v0, 0xffe, v21, v0
	v_cndmask_b32_e64 v19, 0x7c00, v19, s0
	v_cmp_eq_u32_e64 s0, 0x40f, v16
	v_lshrrev_b32_e32 v21, 16, v4
	v_or_b32_e32 v24, 0x1000, v0
	v_cndmask_b32_e64 v16, v19, v3, s0
	v_sub_nc_u32_e32 v19, 0x3f1, v22
	v_cmp_lt_i32_e64 s0, 5, v23
	v_mul_f64 v[3:4], v[12:13], s[4:5]
	v_and_or_b32 v13, 0x8000, v21, v16
	v_med3_i32 v12, v19, 0, 13
	s_or_b32 s0, s1, s0
	v_add_nc_u32_e32 v21, 0xfffffc10, v22
	v_add_co_ci_u32_e64 v14, s0, 0, v14, s0
	v_lshrrev_b32_e32 v16, v12, v24
	v_cmp_ne_u32_e64 s0, 0, v17
	v_lshl_or_b32 v19, v13, 16, v15
	v_lshlrev_b32_e32 v12, v12, v16
	v_cndmask_b32_e64 v17, 0, 1, s0
	v_cmp_gt_i32_e64 s0, 31, v18
	v_cndmask_b32_e64 v13, 0x7c00, v14, s0
	v_cmp_ne_u32_e64 s0, v12, v24
	v_lshl_or_b32 v14, v17, 9, 0x7c00
	ds_read_b32 v17, v47 offset:2808
	v_and_or_b32 v3, 0x1ff, v4, v3
	v_cndmask_b32_e64 v12, 0, 1, s0
	v_cmp_eq_u32_e64 s0, 0x40f, v18
	v_bfe_u32 v18, v4, 20, 11
	v_or_b32_e32 v12, v16, v12
	v_cndmask_b32_e64 v14, v13, v14, s0
	v_cmp_ne_u32_e64 s0, 0, v3
	v_lshl_or_b32 v13, v21, 12, v0
	v_lshrrev_b32_e32 v16, 8, v4
	v_cvt_f64_f32_e32 v[2:3], v2
	v_and_or_b32 v7, 0x8000, v7, v14
	v_cndmask_b32_e64 v15, 0, 1, s0
	v_cmp_gt_i32_e64 s0, 1, v21
	v_lshrrev_b32_e32 v4, 16, v4
	v_and_b32_e32 v7, 0xffff, v7
	v_and_or_b32 v16, 0xffe, v16, v15
	v_cndmask_b32_e64 v22, v13, v12, s0
	v_sub_nc_u32_e32 v12, 0x3f1, v18
	s_waitcnt lgkmcnt(0)
	v_lshrrev_b32_e32 v23, 16, v17
	v_add_nc_u32_e32 v18, 0xfffffc10, v18
	v_or_b32_e32 v24, 0x1000, v16
	v_and_b32_e32 v15, 7, v22
	v_med3_i32 v25, v12, 0, 13
	v_mul_f16_sdwa v26, v48, v23 dst_sel:DWORD dst_unused:UNUSED_PAD src0_sel:WORD_1 src1_sel:DWORD
	v_add_co_u32 v12, s0, v5, s12
	v_add_co_ci_u32_e64 v13, s0, s13, v6, s0
	v_lshrrev_b32_e32 v27, v25, v24
	v_fmac_f16_e32 v26, v48, v17
	v_cmp_lt_i32_e64 s0, 5, v15
	v_cmp_eq_u32_e64 s1, 3, v15
	v_lshrrev_b32_e32 v14, 2, v22
	v_lshlrev_b32_e32 v22, v25, v27
	v_cvt_f32_f16_e32 v15, v26
	v_mul_f64 v[2:3], v[2:3], s[4:5]
	s_or_b32 s0, s1, s0
	v_mul_f16_sdwa v17, v48, v17 dst_sel:DWORD dst_unused:UNUSED_PAD src0_sel:WORD_1 src1_sel:DWORD
	v_add_co_ci_u32_e64 v25, s0, 0, v14, s0
	v_cmp_ne_u32_e64 s0, v22, v24
	v_cvt_f64_f32_e32 v[14:15], v15
	v_lshl_or_b32 v24, v18, 12, v16
	v_fma_f16 v17, v48, v23, -v17
	v_cndmask_b32_e64 v22, 0, 1, s0
	v_cmp_ne_u32_e64 s0, 0, v0
	v_cvt_f32_f16_e32 v17, v17
	v_or_b32_e32 v22, v27, v22
	v_cndmask_b32_e64 v0, 0, 1, s0
	v_cmp_gt_i32_e64 s0, 31, v21
	v_lshl_or_b32 v0, v0, 9, 0x7c00
	v_cndmask_b32_e64 v23, 0x7c00, v25, s0
	v_cmp_gt_i32_e64 s0, 1, v18
	v_and_or_b32 v2, 0x1ff, v3, v2
	v_bfe_u32 v25, v3, 20, 11
	v_cndmask_b32_e64 v22, v24, v22, s0
	v_cmp_eq_u32_e64 s0, 0x40f, v21
	v_mul_f64 v[14:15], v[14:15], s[4:5]
	v_lshrrev_b32_e32 v24, 8, v3
	v_lshrrev_b32_e32 v3, 16, v3
	v_cndmask_b32_e64 v21, v23, v0, s0
	v_lshrrev_b32_e32 v23, 16, v1
	v_cvt_f64_f32_e32 v[0:1], v17
	v_cmp_ne_u32_e64 s0, 0, v2
	v_and_b32_e32 v17, 7, v22
	v_and_or_b32 v21, 0x8000, v23, v21
	v_sub_nc_u32_e32 v23, 0x3f1, v25
	v_cndmask_b32_e64 v2, 0, 1, s0
	v_cmp_lt_i32_e64 s0, 5, v17
	v_cmp_eq_u32_e64 s1, 3, v17
	v_lshrrev_b32_e32 v17, 2, v22
	v_lshl_or_b32 v7, v21, 16, v7
	v_and_or_b32 v2, 0xffe, v24, v2
	v_med3_i32 v22, v23, 0, 13
	s_or_b32 s0, s1, s0
	v_add_co_ci_u32_e64 v17, s0, 0, v17, s0
	v_or_b32_e32 v21, 0x1000, v2
	v_cmp_ne_u32_e64 s0, 0, v16
	v_and_or_b32 v14, 0x1ff, v15, v14
	v_lshrrev_b32_e32 v24, 8, v15
	v_bfe_u32 v26, v15, 20, 11
	v_lshrrev_b32_e32 v23, v22, v21
	v_cndmask_b32_e64 v16, 0, 1, s0
	v_cmp_gt_i32_e64 s0, 31, v18
	v_mul_f64 v[0:1], v[0:1], s[4:5]
	v_lshrrev_b32_e32 v15, 16, v15
	v_lshlrev_b32_e32 v22, v22, v23
	v_lshl_or_b32 v16, v16, 9, 0x7c00
	v_cndmask_b32_e64 v17, 0x7c00, v17, s0
	v_cmp_ne_u32_e64 s0, 0, v14
	v_cndmask_b32_e64 v14, 0, 1, s0
	v_cmp_ne_u32_e64 s0, v22, v21
	v_add_nc_u32_e32 v22, 0xfffffc10, v25
	v_and_or_b32 v14, 0xffe, v24, v14
	v_cndmask_b32_e64 v21, 0, 1, s0
	v_sub_nc_u32_e32 v24, 0x3f1, v26
	v_cmp_eq_u32_e64 s0, 0x40f, v18
	v_lshl_or_b32 v18, v22, 12, v2
	v_and_or_b32 v0, 0x1ff, v1, v0
	v_cndmask_b32_e64 v16, v17, v16, s0
	v_or_b32_e32 v17, v23, v21
	v_or_b32_e32 v21, 0x1000, v14
	v_med3_i32 v23, v24, 0, 13
	v_cmp_gt_i32_e64 s0, 1, v22
	v_lshrrev_b32_e32 v24, 8, v1
	v_bfe_u32 v25, v1, 20, 11
	v_and_or_b32 v4, 0x8000, v4, v16
	v_lshrrev_b32_e32 v1, 16, v1
	v_cndmask_b32_e64 v17, v18, v17, s0
	v_lshrrev_b32_e32 v18, v23, v21
	v_cmp_ne_u32_e64 s0, 0, v0
	v_sub_nc_u32_e32 v16, 0x3f1, v25
	v_and_b32_e32 v4, 0xffff, v4
	v_and_b32_e32 v27, 7, v17
	v_lshlrev_b32_e32 v23, v23, v18
	v_cndmask_b32_e64 v0, 0, 1, s0
	v_lshrrev_b32_e32 v17, 2, v17
	v_med3_i32 v16, v16, 0, 13
	v_cmp_lt_i32_e64 s0, 5, v27
	v_cmp_ne_u32_e64 s1, v23, v21
	v_and_or_b32 v0, 0xffe, v24, v0
	v_add_nc_u32_e32 v24, 0xfffffc10, v26
	v_cndmask_b32_e64 v21, 0, 1, s1
	v_cmp_eq_u32_e64 s1, 3, v27
	v_or_b32_e32 v23, 0x1000, v0
	v_lshl_or_b32 v26, v24, 12, v14
	v_or_b32_e32 v18, v18, v21
	s_or_b32 s0, s1, s0
	v_lshrrev_b32_e32 v21, v16, v23
	v_add_co_ci_u32_e64 v17, s0, 0, v17, s0
	v_cmp_gt_i32_e64 s0, 1, v24
	v_lshlrev_b32_e32 v16, v16, v21
	v_cndmask_b32_e64 v18, v26, v18, s0
	v_cmp_ne_u32_e64 s0, 0, v2
	v_cndmask_b32_e64 v2, 0, 1, s0
	v_cmp_ne_u32_e64 s0, v16, v23
	v_add_nc_u32_e32 v23, 0xfffffc10, v25
	v_and_b32_e32 v25, 7, v18
	v_lshl_or_b32 v2, v2, 9, 0x7c00
	v_cndmask_b32_e64 v16, 0, 1, s0
	v_cmp_gt_i32_e64 s0, 31, v22
	v_cmp_gt_i32_e64 s2, 1, v23
	v_cmp_eq_u32_e64 s1, 3, v25
	v_or_b32_e32 v16, v21, v16
	v_lshl_or_b32 v21, v23, 12, v0
	v_cndmask_b32_e64 v17, 0x7c00, v17, s0
	v_cmp_lt_i32_e64 s0, 5, v25
	v_cndmask_b32_e64 v16, v21, v16, s2
	v_cmp_eq_u32_e64 s2, 0x40f, v22
	s_or_b32 s0, s1, s0
	v_cndmask_b32_e64 v2, v17, v2, s2
	v_lshrrev_b32_e32 v17, 2, v18
	v_and_b32_e32 v18, 7, v16
	v_lshrrev_b32_e32 v16, 2, v16
	v_cmp_gt_i32_e64 s2, 31, v24
	v_add_co_ci_u32_e64 v17, s0, 0, v17, s0
	v_cmp_ne_u32_e64 s0, 0, v14
	v_cmp_eq_u32_e64 s1, 3, v18
	v_cndmask_b32_e64 v17, 0x7c00, v17, s2
	v_cndmask_b32_e64 v14, 0, 1, s0
	v_cmp_lt_i32_e64 s0, 5, v18
	v_lshl_or_b32 v14, v14, 9, 0x7c00
	s_or_b32 s0, s1, s0
	v_add_co_ci_u32_e64 v16, s0, 0, v16, s0
	v_cmp_ne_u32_e64 s0, 0, v0
	v_cndmask_b32_e64 v0, 0, 1, s0
	v_cmp_eq_u32_e64 s0, 0x40f, v24
	v_lshl_or_b32 v0, v0, 9, 0x7c00
	v_cndmask_b32_e64 v14, v17, v14, s0
	v_cmp_gt_i32_e64 s0, 31, v23
	v_and_or_b32 v17, 0x8000, v3, v2
	v_and_or_b32 v14, 0x8000, v15, v14
	v_cndmask_b32_e64 v16, 0x7c00, v16, s0
	v_cmp_eq_u32_e64 s0, 0x40f, v23
	v_lshl_or_b32 v4, v17, 16, v4
	v_cndmask_b32_e64 v0, v16, v0, s0
	v_add_co_u32 v2, s0, v12, s6
	v_add_co_ci_u32_e64 v3, s0, s7, v13, s0
	v_and_or_b32 v0, 0x8000, v1, v0
	v_and_b32_e32 v1, 0xffff, v14
	v_add_co_u32 v14, s0, v2, s12
	v_add_co_ci_u32_e64 v15, s0, s13, v3, s0
	v_lshl_or_b32 v16, v0, 16, v1
	v_add_co_u32 v0, s0, v14, s12
	v_add_co_ci_u32_e64 v1, s0, s13, v15, s0
	global_store_dword v[5:6], v20, off
	global_store_dword v[12:13], v19, off
	;; [unrolled: 1-line block ×5, first 2 shown]
	s_and_b32 exec_lo, exec_lo, vcc_lo
	s_cbranch_execz .LBB0_39
; %bb.38:
	s_clause 0x2
	global_load_dword v2, v[10:11], off offset:972
	global_load_dword v4, v[8:9], off offset:4
	;; [unrolled: 1-line block ×3, first 2 shown]
	ds_read_b32 v3, v47 offset:972
	ds_read_b32 v5, v47 offset:2052
	;; [unrolled: 1-line block ×3, first 2 shown]
	v_add_co_u32 v0, vcc_lo, v0, s6
	v_add_co_ci_u32_e32 v1, vcc_lo, s7, v1, vcc_lo
	v_add_co_u32 v14, vcc_lo, v0, s12
	v_add_co_ci_u32_e32 v15, vcc_lo, s13, v1, vcc_lo
	s_waitcnt lgkmcnt(2)
	v_lshrrev_b32_e32 v8, 16, v3
	s_waitcnt lgkmcnt(1)
	v_lshrrev_b32_e32 v10, 16, v5
	s_waitcnt lgkmcnt(0)
	v_lshrrev_b32_e32 v12, 16, v7
	s_waitcnt vmcnt(2)
	v_mul_f16_sdwa v9, v8, v2 dst_sel:DWORD dst_unused:UNUSED_PAD src0_sel:DWORD src1_sel:WORD_1
	v_mul_f16_sdwa v11, v3, v2 dst_sel:DWORD dst_unused:UNUSED_PAD src0_sel:DWORD src1_sel:WORD_1
	s_waitcnt vmcnt(1)
	v_mul_f16_sdwa v13, v10, v4 dst_sel:DWORD dst_unused:UNUSED_PAD src0_sel:DWORD src1_sel:WORD_1
	v_fmac_f16_e32 v9, v3, v2
	v_fma_f16 v2, v2, v8, -v11
	v_mul_f16_sdwa v8, v5, v4 dst_sel:DWORD dst_unused:UNUSED_PAD src0_sel:DWORD src1_sel:WORD_1
	v_fmac_f16_e32 v13, v5, v4
	v_cvt_f32_f16_e32 v3, v9
	v_cvt_f32_f16_e32 v5, v2
	s_waitcnt vmcnt(0)
	v_mul_f16_sdwa v9, v12, v6 dst_sel:DWORD dst_unused:UNUSED_PAD src0_sel:DWORD src1_sel:WORD_1
	v_fma_f16 v8, v4, v10, -v8
	v_mul_f16_sdwa v10, v7, v6 dst_sel:DWORD dst_unused:UNUSED_PAD src0_sel:DWORD src1_sel:WORD_1
	v_cvt_f64_f32_e32 v[2:3], v3
	v_cvt_f32_f16_e32 v11, v13
	v_cvt_f64_f32_e32 v[4:5], v5
	v_fmac_f16_e32 v9, v7, v6
	v_cvt_f32_f16_e32 v8, v8
	v_fma_f16 v10, v6, v12, -v10
	v_cvt_f64_f32_e32 v[6:7], v11
	v_cvt_f32_f16_e32 v11, v9
	v_cvt_f64_f32_e32 v[8:9], v8
	v_cvt_f32_f16_e32 v12, v10
	v_cvt_f64_f32_e32 v[10:11], v11
	v_cvt_f64_f32_e32 v[12:13], v12
	v_mul_f64 v[2:3], v[2:3], s[4:5]
	v_mul_f64 v[4:5], v[4:5], s[4:5]
	;; [unrolled: 1-line block ×6, first 2 shown]
	v_and_or_b32 v2, 0x1ff, v3, v2
	v_lshrrev_b32_e32 v16, 8, v3
	v_and_or_b32 v4, 0x1ff, v5, v4
	v_bfe_u32 v17, v3, 20, 11
	v_lshrrev_b32_e32 v18, 8, v5
	v_cmp_ne_u32_e32 vcc_lo, 0, v2
	v_and_or_b32 v6, 0x1ff, v7, v6
	v_bfe_u32 v19, v5, 20, 11
	v_lshrrev_b32_e32 v20, 8, v7
	v_and_or_b32 v8, 0x1ff, v9, v8
	v_cndmask_b32_e64 v2, 0, 1, vcc_lo
	v_cmp_ne_u32_e32 vcc_lo, 0, v4
	v_bfe_u32 v21, v7, 20, 11
	v_and_or_b32 v10, 0x1ff, v11, v10
	v_bfe_u32 v23, v9, 20, 11
	v_and_or_b32 v12, 0x1ff, v13, v12
	v_cndmask_b32_e64 v4, 0, 1, vcc_lo
	v_cmp_ne_u32_e32 vcc_lo, 0, v6
	v_and_or_b32 v2, 0xffe, v16, v2
	v_sub_nc_u32_e32 v28, 0x3f1, v17
	v_add_nc_u32_e32 v17, 0xfffffc10, v17
	v_sub_nc_u32_e32 v29, 0x3f1, v19
	v_cndmask_b32_e64 v6, 0, 1, vcc_lo
	v_cmp_ne_u32_e32 vcc_lo, 0, v8
	v_and_or_b32 v4, 0xffe, v18, v4
	v_lshrrev_b32_e32 v22, 8, v9
	v_bfe_u32 v25, v11, 20, 11
	v_bfe_u32 v27, v13, 20, 11
	v_cndmask_b32_e64 v8, 0, 1, vcc_lo
	v_cmp_ne_u32_e32 vcc_lo, 0, v10
	v_add_nc_u32_e32 v19, 0xfffffc10, v19
	v_sub_nc_u32_e32 v30, 0x3f1, v21
	v_sub_nc_u32_e32 v31, 0x3f1, v23
	v_med3_i32 v16, v28, 0, 13
	v_cndmask_b32_e64 v10, 0, 1, vcc_lo
	v_cmp_ne_u32_e32 vcc_lo, 0, v12
	v_med3_i32 v18, v29, 0, 13
	v_and_or_b32 v6, 0xffe, v20, v6
	v_or_b32_e32 v28, 0x1000, v2
	v_lshl_or_b32 v29, v17, 12, v2
	v_cndmask_b32_e64 v12, 0, 1, vcc_lo
	v_cmp_ne_u32_e32 vcc_lo, 0, v2
	v_lshrrev_b32_e32 v24, 8, v11
	v_lshrrev_b32_e32 v26, 8, v13
	v_add_nc_u32_e32 v21, 0xfffffc10, v21
	v_sub_nc_u32_e32 v32, 0x3f1, v25
	v_cndmask_b32_e64 v2, 0, 1, vcc_lo
	v_cmp_ne_u32_e32 vcc_lo, 0, v4
	v_sub_nc_u32_e32 v33, 0x3f1, v27
	v_med3_i32 v20, v30, 0, 13
	v_and_or_b32 v8, 0xffe, v22, v8
	v_med3_i32 v22, v31, 0, 13
	v_or_b32_e32 v30, 0x1000, v4
	v_lshl_or_b32 v31, v19, 12, v4
	v_cndmask_b32_e64 v4, 0, 1, vcc_lo
	v_cmp_ne_u32_e32 vcc_lo, 0, v6
	v_add_nc_u32_e32 v23, 0xfffffc10, v23
	v_and_or_b32 v10, 0xffe, v24, v10
	v_med3_i32 v24, v32, 0, 13
	v_and_or_b32 v12, 0xffe, v26, v12
	v_med3_i32 v26, v33, 0, 13
	v_or_b32_e32 v32, 0x1000, v6
	v_lshl_or_b32 v33, v21, 12, v6
	v_cndmask_b32_e64 v6, 0, 1, vcc_lo
	v_cmp_ne_u32_e32 vcc_lo, 0, v8
	v_add_nc_u32_e32 v25, 0xfffffc10, v25
	v_or_b32_e32 v34, 0x1000, v8
	v_lshl_or_b32 v35, v23, 12, v8
	v_lshrrev_b32_e32 v40, v16, v28
	v_cndmask_b32_e64 v8, 0, 1, vcc_lo
	v_cmp_ne_u32_e32 vcc_lo, 0, v10
	v_add_nc_u32_e32 v27, 0xfffffc10, v27
	v_or_b32_e32 v36, 0x1000, v10
	v_lshl_or_b32 v37, v25, 12, v10
	v_lshrrev_b32_e32 v41, v18, v30
	v_cndmask_b32_e64 v10, 0, 1, vcc_lo
	v_cmp_ne_u32_e32 vcc_lo, 0, v12
	v_lshlrev_b32_e32 v16, v16, v40
	v_or_b32_e32 v38, 0x1000, v12
	v_lshl_or_b32 v39, v27, 12, v12
	v_lshrrev_b32_e32 v42, v20, v32
	v_cndmask_b32_e64 v12, 0, 1, vcc_lo
	v_lshlrev_b32_e32 v18, v18, v41
	v_cmp_ne_u32_e32 vcc_lo, v16, v28
	v_lshrrev_b32_e32 v43, v22, v34
	v_lshlrev_b32_e32 v20, v20, v42
	v_lshrrev_b32_e32 v44, v24, v36
	v_lshrrev_b32_e32 v45, v26, v38
	v_cndmask_b32_e64 v16, 0, 1, vcc_lo
	v_cmp_ne_u32_e32 vcc_lo, v18, v30
	v_lshlrev_b32_e32 v22, v22, v43
	v_lshlrev_b32_e32 v24, v24, v44
	;; [unrolled: 1-line block ×3, first 2 shown]
	v_or_b32_e32 v16, v40, v16
	v_cndmask_b32_e64 v18, 0, 1, vcc_lo
	v_cmp_ne_u32_e32 vcc_lo, v20, v32
	v_lshl_or_b32 v2, v2, 9, 0x7c00
	v_lshl_or_b32 v4, v4, 9, 0x7c00
	;; [unrolled: 1-line block ×3, first 2 shown]
	v_or_b32_e32 v18, v41, v18
	v_cndmask_b32_e64 v20, 0, 1, vcc_lo
	v_cmp_ne_u32_e32 vcc_lo, v22, v34
	v_lshl_or_b32 v8, v8, 9, 0x7c00
	v_lshl_or_b32 v10, v10, 9, 0x7c00
	v_lshrrev_b32_e32 v3, 16, v3
	v_or_b32_e32 v20, v42, v20
	v_cndmask_b32_e64 v22, 0, 1, vcc_lo
	v_cmp_ne_u32_e32 vcc_lo, v24, v36
	v_lshrrev_b32_e32 v7, 16, v7
	v_lshrrev_b32_e32 v5, 16, v5
	;; [unrolled: 1-line block ×3, first 2 shown]
	v_or_b32_e32 v22, v43, v22
	v_cndmask_b32_e64 v24, 0, 1, vcc_lo
	v_cmp_ne_u32_e32 vcc_lo, v26, v38
	v_lshl_or_b32 v12, v12, 9, 0x7c00
	v_lshrrev_b32_e32 v9, 16, v9
	v_lshrrev_b32_e32 v13, 16, v13
	v_or_b32_e32 v24, v44, v24
	v_cndmask_b32_e64 v26, 0, 1, vcc_lo
	v_cmp_gt_i32_e32 vcc_lo, 1, v17
	v_or_b32_e32 v26, v45, v26
	v_cndmask_b32_e32 v16, v29, v16, vcc_lo
	v_cmp_gt_i32_e32 vcc_lo, 1, v19
	v_and_b32_e32 v28, 7, v16
	v_cndmask_b32_e32 v18, v31, v18, vcc_lo
	v_cmp_gt_i32_e32 vcc_lo, 1, v21
	v_lshrrev_b32_e32 v16, 2, v16
	v_cmp_eq_u32_e64 s0, 3, v28
	v_and_b32_e32 v29, 7, v18
	v_cndmask_b32_e32 v20, v33, v20, vcc_lo
	v_cmp_gt_i32_e32 vcc_lo, 1, v23
	v_lshrrev_b32_e32 v18, 2, v18
	v_cmp_lt_i32_e64 s1, 5, v29
	v_and_b32_e32 v30, 7, v20
	v_cndmask_b32_e32 v22, v35, v22, vcc_lo
	v_cmp_gt_i32_e32 vcc_lo, 1, v25
	v_cmp_eq_u32_e64 s2, 3, v29
	v_lshrrev_b32_e32 v20, 2, v20
	v_cmp_lt_i32_e64 s3, 5, v30
	v_and_b32_e32 v31, 7, v22
	v_cndmask_b32_e32 v24, v37, v24, vcc_lo
	v_cmp_gt_i32_e32 vcc_lo, 1, v27
	v_cmp_eq_u32_e64 s4, 3, v30
	v_lshrrev_b32_e32 v22, 2, v22
	v_cmp_lt_i32_e64 s5, 5, v31
	v_and_b32_e32 v32, 7, v24
	v_cndmask_b32_e32 v26, v39, v26, vcc_lo
	v_cmp_lt_i32_e32 vcc_lo, 5, v28
	v_cmp_eq_u32_e64 s6, 3, v31
	v_lshrrev_b32_e32 v24, 2, v24
	v_cmp_lt_i32_e64 s7, 5, v32
	v_and_b32_e32 v33, 7, v26
	s_or_b32 vcc_lo, s0, vcc_lo
	v_cmp_eq_u32_e64 s8, 3, v32
	v_add_co_ci_u32_e32 v16, vcc_lo, 0, v16, vcc_lo
	s_or_b32 vcc_lo, s2, s1
	v_cmp_lt_i32_e64 s9, 5, v33
	v_add_co_ci_u32_e32 v18, vcc_lo, 0, v18, vcc_lo
	s_or_b32 vcc_lo, s4, s3
	v_cmp_eq_u32_e64 s10, 3, v33
	v_add_co_ci_u32_e32 v20, vcc_lo, 0, v20, vcc_lo
	s_or_b32 vcc_lo, s6, s5
	v_lshrrev_b32_e32 v26, 2, v26
	v_add_co_ci_u32_e32 v22, vcc_lo, 0, v22, vcc_lo
	s_or_b32 vcc_lo, s8, s7
	v_add_co_ci_u32_e32 v24, vcc_lo, 0, v24, vcc_lo
	s_or_b32 vcc_lo, s10, s9
	v_add_co_ci_u32_e32 v26, vcc_lo, 0, v26, vcc_lo
	v_cmp_gt_i32_e32 vcc_lo, 31, v17
	v_cndmask_b32_e32 v16, 0x7c00, v16, vcc_lo
	v_cmp_gt_i32_e32 vcc_lo, 31, v19
	v_cndmask_b32_e32 v18, 0x7c00, v18, vcc_lo
	;; [unrolled: 2-line block ×6, first 2 shown]
	v_cmp_eq_u32_e32 vcc_lo, 0x40f, v17
	v_cndmask_b32_e32 v2, v16, v2, vcc_lo
	v_cmp_eq_u32_e32 vcc_lo, 0x40f, v19
	v_and_or_b32 v2, 0x8000, v3, v2
	v_cndmask_b32_e32 v4, v18, v4, vcc_lo
	v_cmp_eq_u32_e32 vcc_lo, 0x40f, v21
	v_and_or_b32 v4, 0x8000, v5, v4
	;; [unrolled: 3-line block ×4, first 2 shown]
	v_cndmask_b32_e32 v10, v24, v10, vcc_lo
	v_cmp_eq_u32_e32 vcc_lo, 0x40f, v27
	v_and_b32_e32 v8, 0xffff, v2
	v_and_b32_e32 v9, 0xffff, v3
	v_and_or_b32 v5, 0x8000, v11, v10
	v_cndmask_b32_e32 v12, v26, v12, vcc_lo
	v_add_co_u32 v2, vcc_lo, v14, s12
	v_lshl_or_b32 v4, v4, 16, v8
	v_and_b32_e32 v5, 0xffff, v5
	v_and_or_b32 v7, 0x8000, v13, v12
	v_lshl_or_b32 v6, v6, 16, v9
	v_add_co_ci_u32_e32 v3, vcc_lo, s13, v15, vcc_lo
	v_lshl_or_b32 v5, v7, 16, v5
	global_store_dword v[0:1], v4, off
	global_store_dword v[14:15], v6, off
	;; [unrolled: 1-line block ×3, first 2 shown]
.LBB0_39:
	s_endpgm
	.section	.rodata,"a",@progbits
	.p2align	6, 0x0
	.amdhsa_kernel bluestein_single_back_len810_dim1_half_op_CI_CI
		.amdhsa_group_segment_fixed_size 3240
		.amdhsa_private_segment_fixed_size 0
		.amdhsa_kernarg_size 104
		.amdhsa_user_sgpr_count 6
		.amdhsa_user_sgpr_private_segment_buffer 1
		.amdhsa_user_sgpr_dispatch_ptr 0
		.amdhsa_user_sgpr_queue_ptr 0
		.amdhsa_user_sgpr_kernarg_segment_ptr 1
		.amdhsa_user_sgpr_dispatch_id 0
		.amdhsa_user_sgpr_flat_scratch_init 0
		.amdhsa_user_sgpr_private_segment_size 0
		.amdhsa_wavefront_size32 1
		.amdhsa_uses_dynamic_stack 0
		.amdhsa_system_sgpr_private_segment_wavefront_offset 0
		.amdhsa_system_sgpr_workgroup_id_x 1
		.amdhsa_system_sgpr_workgroup_id_y 0
		.amdhsa_system_sgpr_workgroup_id_z 0
		.amdhsa_system_sgpr_workgroup_info 0
		.amdhsa_system_vgpr_workitem_id 0
		.amdhsa_next_free_vgpr 100
		.amdhsa_next_free_sgpr 16
		.amdhsa_reserve_vcc 1
		.amdhsa_reserve_flat_scratch 0
		.amdhsa_float_round_mode_32 0
		.amdhsa_float_round_mode_16_64 0
		.amdhsa_float_denorm_mode_32 3
		.amdhsa_float_denorm_mode_16_64 3
		.amdhsa_dx10_clamp 1
		.amdhsa_ieee_mode 1
		.amdhsa_fp16_overflow 0
		.amdhsa_workgroup_processor_mode 1
		.amdhsa_memory_ordered 1
		.amdhsa_forward_progress 0
		.amdhsa_shared_vgpr_count 0
		.amdhsa_exception_fp_ieee_invalid_op 0
		.amdhsa_exception_fp_denorm_src 0
		.amdhsa_exception_fp_ieee_div_zero 0
		.amdhsa_exception_fp_ieee_overflow 0
		.amdhsa_exception_fp_ieee_underflow 0
		.amdhsa_exception_fp_ieee_inexact 0
		.amdhsa_exception_int_div_zero 0
	.end_amdhsa_kernel
	.text
.Lfunc_end0:
	.size	bluestein_single_back_len810_dim1_half_op_CI_CI, .Lfunc_end0-bluestein_single_back_len810_dim1_half_op_CI_CI
                                        ; -- End function
	.section	.AMDGPU.csdata,"",@progbits
; Kernel info:
; codeLenInByte = 20064
; NumSgprs: 18
; NumVgprs: 100
; ScratchSize: 0
; MemoryBound: 0
; FloatMode: 240
; IeeeMode: 1
; LDSByteSize: 3240 bytes/workgroup (compile time only)
; SGPRBlocks: 2
; VGPRBlocks: 12
; NumSGPRsForWavesPerEU: 18
; NumVGPRsForWavesPerEU: 100
; Occupancy: 9
; WaveLimiterHint : 1
; COMPUTE_PGM_RSRC2:SCRATCH_EN: 0
; COMPUTE_PGM_RSRC2:USER_SGPR: 6
; COMPUTE_PGM_RSRC2:TRAP_HANDLER: 0
; COMPUTE_PGM_RSRC2:TGID_X_EN: 1
; COMPUTE_PGM_RSRC2:TGID_Y_EN: 0
; COMPUTE_PGM_RSRC2:TGID_Z_EN: 0
; COMPUTE_PGM_RSRC2:TIDIG_COMP_CNT: 0
	.text
	.p2alignl 6, 3214868480
	.fill 48, 4, 3214868480
	.type	__hip_cuid_b86d7e26e3a210d2,@object ; @__hip_cuid_b86d7e26e3a210d2
	.section	.bss,"aw",@nobits
	.globl	__hip_cuid_b86d7e26e3a210d2
__hip_cuid_b86d7e26e3a210d2:
	.byte	0                               ; 0x0
	.size	__hip_cuid_b86d7e26e3a210d2, 1

	.ident	"AMD clang version 19.0.0git (https://github.com/RadeonOpenCompute/llvm-project roc-6.4.0 25133 c7fe45cf4b819c5991fe208aaa96edf142730f1d)"
	.section	".note.GNU-stack","",@progbits
	.addrsig
	.addrsig_sym __hip_cuid_b86d7e26e3a210d2
	.amdgpu_metadata
---
amdhsa.kernels:
  - .args:
      - .actual_access:  read_only
        .address_space:  global
        .offset:         0
        .size:           8
        .value_kind:     global_buffer
      - .actual_access:  read_only
        .address_space:  global
        .offset:         8
        .size:           8
        .value_kind:     global_buffer
      - .actual_access:  read_only
        .address_space:  global
        .offset:         16
        .size:           8
        .value_kind:     global_buffer
      - .actual_access:  read_only
        .address_space:  global
        .offset:         24
        .size:           8
        .value_kind:     global_buffer
      - .actual_access:  read_only
        .address_space:  global
        .offset:         32
        .size:           8
        .value_kind:     global_buffer
      - .offset:         40
        .size:           8
        .value_kind:     by_value
      - .address_space:  global
        .offset:         48
        .size:           8
        .value_kind:     global_buffer
      - .address_space:  global
        .offset:         56
        .size:           8
        .value_kind:     global_buffer
      - .address_space:  global
        .offset:         64
        .size:           8
        .value_kind:     global_buffer
      - .address_space:  global
        .offset:         72
        .size:           8
        .value_kind:     global_buffer
      - .offset:         80
        .size:           4
        .value_kind:     by_value
      - .address_space:  global
        .offset:         88
        .size:           8
        .value_kind:     global_buffer
      - .address_space:  global
        .offset:         96
        .size:           8
        .value_kind:     global_buffer
    .group_segment_fixed_size: 3240
    .kernarg_segment_align: 8
    .kernarg_segment_size: 104
    .language:       OpenCL C
    .language_version:
      - 2
      - 0
    .max_flat_workgroup_size: 81
    .name:           bluestein_single_back_len810_dim1_half_op_CI_CI
    .private_segment_fixed_size: 0
    .sgpr_count:     18
    .sgpr_spill_count: 0
    .symbol:         bluestein_single_back_len810_dim1_half_op_CI_CI.kd
    .uniform_work_group_size: 1
    .uses_dynamic_stack: false
    .vgpr_count:     100
    .vgpr_spill_count: 0
    .wavefront_size: 32
    .workgroup_processor_mode: 1
amdhsa.target:   amdgcn-amd-amdhsa--gfx1030
amdhsa.version:
  - 1
  - 2
...

	.end_amdgpu_metadata
